;; amdgpu-corpus repo=ROCm/rocFFT kind=compiled arch=gfx1100 opt=O3
	.text
	.amdgcn_target "amdgcn-amd-amdhsa--gfx1100"
	.amdhsa_code_object_version 6
	.protected	fft_rtc_back_len2002_factors_2_13_7_11_wgs_182_tpt_182_halfLds_dp_op_CI_CI_unitstride_sbrr_C2R_dirReg ; -- Begin function fft_rtc_back_len2002_factors_2_13_7_11_wgs_182_tpt_182_halfLds_dp_op_CI_CI_unitstride_sbrr_C2R_dirReg
	.globl	fft_rtc_back_len2002_factors_2_13_7_11_wgs_182_tpt_182_halfLds_dp_op_CI_CI_unitstride_sbrr_C2R_dirReg
	.p2align	8
	.type	fft_rtc_back_len2002_factors_2_13_7_11_wgs_182_tpt_182_halfLds_dp_op_CI_CI_unitstride_sbrr_C2R_dirReg,@function
fft_rtc_back_len2002_factors_2_13_7_11_wgs_182_tpt_182_halfLds_dp_op_CI_CI_unitstride_sbrr_C2R_dirReg: ; @fft_rtc_back_len2002_factors_2_13_7_11_wgs_182_tpt_182_halfLds_dp_op_CI_CI_unitstride_sbrr_C2R_dirReg
; %bb.0:
	s_clause 0x2
	s_load_b128 s[8:11], s[0:1], 0x0
	s_load_b128 s[4:7], s[0:1], 0x58
	;; [unrolled: 1-line block ×3, first 2 shown]
	v_mul_u32_u24_e32 v1, 0x169, v0
	v_mov_b32_e32 v3, 0
	s_delay_alu instid0(VALU_DEP_2) | instskip(NEXT) | instid1(VALU_DEP_1)
	v_lshrrev_b32_e32 v1, 16, v1
	v_add_nc_u32_e32 v5, s15, v1
	v_mov_b32_e32 v1, 0
	v_mov_b32_e32 v2, 0
	;; [unrolled: 1-line block ×3, first 2 shown]
	s_waitcnt lgkmcnt(0)
	v_cmp_lt_u64_e64 s2, s[10:11], 2
	s_delay_alu instid0(VALU_DEP_1)
	s_and_b32 vcc_lo, exec_lo, s2
	s_cbranch_vccnz .LBB0_8
; %bb.1:
	s_load_b64 s[2:3], s[0:1], 0x10
	v_mov_b32_e32 v1, 0
	v_mov_b32_e32 v2, 0
	s_add_u32 s12, s18, 8
	s_addc_u32 s13, s19, 0
	s_add_u32 s14, s16, 8
	s_addc_u32 s15, s17, 0
	v_dual_mov_b32 v77, v2 :: v_dual_mov_b32 v76, v1
	s_mov_b64 s[22:23], 1
	s_waitcnt lgkmcnt(0)
	s_add_u32 s20, s2, 8
	s_addc_u32 s21, s3, 0
.LBB0_2:                                ; =>This Inner Loop Header: Depth=1
	s_load_b64 s[24:25], s[20:21], 0x0
                                        ; implicit-def: $vgpr80_vgpr81
	s_mov_b32 s2, exec_lo
	s_waitcnt lgkmcnt(0)
	v_or_b32_e32 v4, s25, v6
	s_delay_alu instid0(VALU_DEP_1)
	v_cmpx_ne_u64_e32 0, v[3:4]
	s_xor_b32 s3, exec_lo, s2
	s_cbranch_execz .LBB0_4
; %bb.3:                                ;   in Loop: Header=BB0_2 Depth=1
	v_cvt_f32_u32_e32 v4, s24
	v_cvt_f32_u32_e32 v7, s25
	s_sub_u32 s2, 0, s24
	s_subb_u32 s26, 0, s25
	s_delay_alu instid0(VALU_DEP_1) | instskip(NEXT) | instid1(VALU_DEP_1)
	v_fmac_f32_e32 v4, 0x4f800000, v7
	v_rcp_f32_e32 v4, v4
	s_waitcnt_depctr 0xfff
	v_mul_f32_e32 v4, 0x5f7ffffc, v4
	s_delay_alu instid0(VALU_DEP_1) | instskip(NEXT) | instid1(VALU_DEP_1)
	v_mul_f32_e32 v7, 0x2f800000, v4
	v_trunc_f32_e32 v7, v7
	s_delay_alu instid0(VALU_DEP_1) | instskip(SKIP_1) | instid1(VALU_DEP_2)
	v_fmac_f32_e32 v4, 0xcf800000, v7
	v_cvt_u32_f32_e32 v7, v7
	v_cvt_u32_f32_e32 v4, v4
	s_delay_alu instid0(VALU_DEP_2) | instskip(NEXT) | instid1(VALU_DEP_2)
	v_mul_lo_u32 v8, s2, v7
	v_mul_hi_u32 v9, s2, v4
	v_mul_lo_u32 v10, s26, v4
	s_delay_alu instid0(VALU_DEP_2) | instskip(SKIP_1) | instid1(VALU_DEP_2)
	v_add_nc_u32_e32 v8, v9, v8
	v_mul_lo_u32 v9, s2, v4
	v_add_nc_u32_e32 v8, v8, v10
	s_delay_alu instid0(VALU_DEP_2) | instskip(NEXT) | instid1(VALU_DEP_2)
	v_mul_hi_u32 v10, v4, v9
	v_mul_lo_u32 v11, v4, v8
	v_mul_hi_u32 v12, v4, v8
	v_mul_hi_u32 v13, v7, v9
	v_mul_lo_u32 v9, v7, v9
	v_mul_hi_u32 v14, v7, v8
	v_mul_lo_u32 v8, v7, v8
	v_add_co_u32 v10, vcc_lo, v10, v11
	v_add_co_ci_u32_e32 v11, vcc_lo, 0, v12, vcc_lo
	s_delay_alu instid0(VALU_DEP_2) | instskip(NEXT) | instid1(VALU_DEP_2)
	v_add_co_u32 v9, vcc_lo, v10, v9
	v_add_co_ci_u32_e32 v9, vcc_lo, v11, v13, vcc_lo
	v_add_co_ci_u32_e32 v10, vcc_lo, 0, v14, vcc_lo
	s_delay_alu instid0(VALU_DEP_2) | instskip(NEXT) | instid1(VALU_DEP_2)
	v_add_co_u32 v8, vcc_lo, v9, v8
	v_add_co_ci_u32_e32 v9, vcc_lo, 0, v10, vcc_lo
	s_delay_alu instid0(VALU_DEP_2) | instskip(NEXT) | instid1(VALU_DEP_2)
	v_add_co_u32 v4, vcc_lo, v4, v8
	v_add_co_ci_u32_e32 v7, vcc_lo, v7, v9, vcc_lo
	s_delay_alu instid0(VALU_DEP_2) | instskip(SKIP_1) | instid1(VALU_DEP_3)
	v_mul_hi_u32 v8, s2, v4
	v_mul_lo_u32 v10, s26, v4
	v_mul_lo_u32 v9, s2, v7
	s_delay_alu instid0(VALU_DEP_1) | instskip(SKIP_1) | instid1(VALU_DEP_2)
	v_add_nc_u32_e32 v8, v8, v9
	v_mul_lo_u32 v9, s2, v4
	v_add_nc_u32_e32 v8, v8, v10
	s_delay_alu instid0(VALU_DEP_2) | instskip(NEXT) | instid1(VALU_DEP_2)
	v_mul_hi_u32 v10, v4, v9
	v_mul_lo_u32 v11, v4, v8
	v_mul_hi_u32 v12, v4, v8
	v_mul_hi_u32 v13, v7, v9
	v_mul_lo_u32 v9, v7, v9
	v_mul_hi_u32 v14, v7, v8
	v_mul_lo_u32 v8, v7, v8
	v_add_co_u32 v10, vcc_lo, v10, v11
	v_add_co_ci_u32_e32 v11, vcc_lo, 0, v12, vcc_lo
	s_delay_alu instid0(VALU_DEP_2) | instskip(NEXT) | instid1(VALU_DEP_2)
	v_add_co_u32 v9, vcc_lo, v10, v9
	v_add_co_ci_u32_e32 v9, vcc_lo, v11, v13, vcc_lo
	v_add_co_ci_u32_e32 v10, vcc_lo, 0, v14, vcc_lo
	s_delay_alu instid0(VALU_DEP_2) | instskip(NEXT) | instid1(VALU_DEP_2)
	v_add_co_u32 v8, vcc_lo, v9, v8
	v_add_co_ci_u32_e32 v9, vcc_lo, 0, v10, vcc_lo
	s_delay_alu instid0(VALU_DEP_2) | instskip(NEXT) | instid1(VALU_DEP_2)
	v_add_co_u32 v4, vcc_lo, v4, v8
	v_add_co_ci_u32_e32 v13, vcc_lo, v7, v9, vcc_lo
	s_delay_alu instid0(VALU_DEP_2) | instskip(SKIP_1) | instid1(VALU_DEP_3)
	v_mul_hi_u32 v14, v5, v4
	v_mad_u64_u32 v[9:10], null, v6, v4, 0
	v_mad_u64_u32 v[7:8], null, v5, v13, 0
	;; [unrolled: 1-line block ×3, first 2 shown]
	s_delay_alu instid0(VALU_DEP_2) | instskip(NEXT) | instid1(VALU_DEP_3)
	v_add_co_u32 v4, vcc_lo, v14, v7
	v_add_co_ci_u32_e32 v7, vcc_lo, 0, v8, vcc_lo
	s_delay_alu instid0(VALU_DEP_2) | instskip(NEXT) | instid1(VALU_DEP_2)
	v_add_co_u32 v4, vcc_lo, v4, v9
	v_add_co_ci_u32_e32 v4, vcc_lo, v7, v10, vcc_lo
	v_add_co_ci_u32_e32 v7, vcc_lo, 0, v12, vcc_lo
	s_delay_alu instid0(VALU_DEP_2) | instskip(NEXT) | instid1(VALU_DEP_2)
	v_add_co_u32 v4, vcc_lo, v4, v11
	v_add_co_ci_u32_e32 v9, vcc_lo, 0, v7, vcc_lo
	s_delay_alu instid0(VALU_DEP_2) | instskip(SKIP_1) | instid1(VALU_DEP_3)
	v_mul_lo_u32 v10, s25, v4
	v_mad_u64_u32 v[7:8], null, s24, v4, 0
	v_mul_lo_u32 v11, s24, v9
	s_delay_alu instid0(VALU_DEP_2) | instskip(NEXT) | instid1(VALU_DEP_2)
	v_sub_co_u32 v7, vcc_lo, v5, v7
	v_add3_u32 v8, v8, v11, v10
	s_delay_alu instid0(VALU_DEP_1) | instskip(NEXT) | instid1(VALU_DEP_1)
	v_sub_nc_u32_e32 v10, v6, v8
	v_subrev_co_ci_u32_e64 v10, s2, s25, v10, vcc_lo
	v_add_co_u32 v11, s2, v4, 2
	s_delay_alu instid0(VALU_DEP_1) | instskip(SKIP_3) | instid1(VALU_DEP_3)
	v_add_co_ci_u32_e64 v12, s2, 0, v9, s2
	v_sub_co_u32 v13, s2, v7, s24
	v_sub_co_ci_u32_e32 v8, vcc_lo, v6, v8, vcc_lo
	v_subrev_co_ci_u32_e64 v10, s2, 0, v10, s2
	v_cmp_le_u32_e32 vcc_lo, s24, v13
	s_delay_alu instid0(VALU_DEP_3) | instskip(SKIP_1) | instid1(VALU_DEP_4)
	v_cmp_eq_u32_e64 s2, s25, v8
	v_cndmask_b32_e64 v13, 0, -1, vcc_lo
	v_cmp_le_u32_e32 vcc_lo, s25, v10
	v_cndmask_b32_e64 v14, 0, -1, vcc_lo
	v_cmp_le_u32_e32 vcc_lo, s24, v7
	;; [unrolled: 2-line block ×3, first 2 shown]
	v_cndmask_b32_e64 v15, 0, -1, vcc_lo
	v_cmp_eq_u32_e32 vcc_lo, s25, v10
	s_delay_alu instid0(VALU_DEP_2) | instskip(SKIP_3) | instid1(VALU_DEP_3)
	v_cndmask_b32_e64 v7, v15, v7, s2
	v_cndmask_b32_e32 v10, v14, v13, vcc_lo
	v_add_co_u32 v13, vcc_lo, v4, 1
	v_add_co_ci_u32_e32 v14, vcc_lo, 0, v9, vcc_lo
	v_cmp_ne_u32_e32 vcc_lo, 0, v10
	s_delay_alu instid0(VALU_DEP_2) | instskip(NEXT) | instid1(VALU_DEP_4)
	v_cndmask_b32_e32 v8, v14, v12, vcc_lo
	v_cndmask_b32_e32 v10, v13, v11, vcc_lo
	v_cmp_ne_u32_e32 vcc_lo, 0, v7
	s_delay_alu instid0(VALU_DEP_2)
	v_dual_cndmask_b32 v81, v9, v8 :: v_dual_cndmask_b32 v80, v4, v10
.LBB0_4:                                ;   in Loop: Header=BB0_2 Depth=1
	s_and_not1_saveexec_b32 s2, s3
	s_cbranch_execz .LBB0_6
; %bb.5:                                ;   in Loop: Header=BB0_2 Depth=1
	v_cvt_f32_u32_e32 v4, s24
	s_sub_i32 s3, 0, s24
	v_mov_b32_e32 v81, v3
	s_delay_alu instid0(VALU_DEP_2) | instskip(SKIP_2) | instid1(VALU_DEP_1)
	v_rcp_iflag_f32_e32 v4, v4
	s_waitcnt_depctr 0xfff
	v_mul_f32_e32 v4, 0x4f7ffffe, v4
	v_cvt_u32_f32_e32 v4, v4
	s_delay_alu instid0(VALU_DEP_1) | instskip(NEXT) | instid1(VALU_DEP_1)
	v_mul_lo_u32 v7, s3, v4
	v_mul_hi_u32 v7, v4, v7
	s_delay_alu instid0(VALU_DEP_1) | instskip(NEXT) | instid1(VALU_DEP_1)
	v_add_nc_u32_e32 v4, v4, v7
	v_mul_hi_u32 v4, v5, v4
	s_delay_alu instid0(VALU_DEP_1) | instskip(SKIP_1) | instid1(VALU_DEP_2)
	v_mul_lo_u32 v7, v4, s24
	v_add_nc_u32_e32 v8, 1, v4
	v_sub_nc_u32_e32 v7, v5, v7
	s_delay_alu instid0(VALU_DEP_1) | instskip(SKIP_1) | instid1(VALU_DEP_2)
	v_subrev_nc_u32_e32 v9, s24, v7
	v_cmp_le_u32_e32 vcc_lo, s24, v7
	v_dual_cndmask_b32 v7, v7, v9 :: v_dual_cndmask_b32 v4, v4, v8
	s_delay_alu instid0(VALU_DEP_1) | instskip(NEXT) | instid1(VALU_DEP_2)
	v_cmp_le_u32_e32 vcc_lo, s24, v7
	v_add_nc_u32_e32 v8, 1, v4
	s_delay_alu instid0(VALU_DEP_1)
	v_cndmask_b32_e32 v80, v4, v8, vcc_lo
.LBB0_6:                                ;   in Loop: Header=BB0_2 Depth=1
	s_or_b32 exec_lo, exec_lo, s2
	s_delay_alu instid0(VALU_DEP_1) | instskip(NEXT) | instid1(VALU_DEP_2)
	v_mul_lo_u32 v4, v81, s24
	v_mul_lo_u32 v9, v80, s25
	s_load_b64 s[2:3], s[14:15], 0x0
	v_mad_u64_u32 v[7:8], null, v80, s24, 0
	s_load_b64 s[24:25], s[12:13], 0x0
	s_add_u32 s22, s22, 1
	s_addc_u32 s23, s23, 0
	s_add_u32 s12, s12, 8
	s_addc_u32 s13, s13, 0
	s_add_u32 s14, s14, 8
	s_delay_alu instid0(VALU_DEP_1) | instskip(SKIP_3) | instid1(VALU_DEP_2)
	v_add3_u32 v4, v8, v9, v4
	v_sub_co_u32 v8, vcc_lo, v5, v7
	s_addc_u32 s15, s15, 0
	s_add_u32 s20, s20, 8
	v_sub_co_ci_u32_e32 v6, vcc_lo, v6, v4, vcc_lo
	s_addc_u32 s21, s21, 0
	s_waitcnt lgkmcnt(0)
	s_delay_alu instid0(VALU_DEP_1)
	v_mul_lo_u32 v9, s2, v6
	v_mul_lo_u32 v10, s3, v8
	v_mad_u64_u32 v[4:5], null, s2, v8, v[1:2]
	v_mul_lo_u32 v11, s24, v6
	v_mul_lo_u32 v12, s25, v8
	v_mad_u64_u32 v[6:7], null, s24, v8, v[76:77]
	v_cmp_ge_u64_e64 s2, s[22:23], s[10:11]
	v_add3_u32 v2, v10, v5, v9
	s_delay_alu instid0(VALU_DEP_3) | instskip(NEXT) | instid1(VALU_DEP_4)
	v_dual_mov_b32 v1, v4 :: v_dual_mov_b32 v76, v6
	v_add3_u32 v77, v12, v7, v11
	s_delay_alu instid0(VALU_DEP_4)
	s_and_b32 vcc_lo, exec_lo, s2
	s_cbranch_vccnz .LBB0_9
; %bb.7:                                ;   in Loop: Header=BB0_2 Depth=1
	v_dual_mov_b32 v5, v80 :: v_dual_mov_b32 v6, v81
	s_branch .LBB0_2
.LBB0_8:
	v_dual_mov_b32 v77, v2 :: v_dual_mov_b32 v76, v1
	v_dual_mov_b32 v81, v6 :: v_dual_mov_b32 v80, v5
.LBB0_9:
	s_load_b64 s[0:1], s[0:1], 0x28
	v_mul_hi_u32 v3, 0x1681682, v0
	s_lshl_b64 s[10:11], s[10:11], 3
                                        ; implicit-def: $vgpr78
	s_delay_alu instid0(SALU_CYCLE_1) | instskip(SKIP_4) | instid1(VALU_DEP_1)
	s_add_u32 s2, s18, s10
	s_addc_u32 s3, s19, s11
	s_waitcnt lgkmcnt(0)
	v_cmp_gt_u64_e32 vcc_lo, s[0:1], v[80:81]
	v_cmp_le_u64_e64 s0, s[0:1], v[80:81]
	s_and_saveexec_b32 s1, s0
	s_delay_alu instid0(SALU_CYCLE_1)
	s_xor_b32 s0, exec_lo, s1
; %bb.10:
	v_mul_u32_u24_e32 v1, 0xb6, v3
                                        ; implicit-def: $vgpr3
	s_delay_alu instid0(VALU_DEP_1)
	v_sub_nc_u32_e32 v78, v0, v1
                                        ; implicit-def: $vgpr0
                                        ; implicit-def: $vgpr1_vgpr2
; %bb.11:
	s_or_saveexec_b32 s1, s0
	s_load_b64 s[2:3], s[2:3], 0x0
	s_xor_b32 exec_lo, exec_lo, s1
	s_cbranch_execz .LBB0_15
; %bb.12:
	s_add_u32 s10, s16, s10
	s_addc_u32 s11, s17, s11
	v_lshlrev_b64 v[1:2], 4, v[1:2]
	s_load_b64 s[10:11], s[10:11], 0x0
	s_waitcnt lgkmcnt(0)
	v_mul_lo_u32 v6, s11, v80
	v_mul_lo_u32 v7, s10, v81
	v_mad_u64_u32 v[4:5], null, s10, v80, 0
	s_delay_alu instid0(VALU_DEP_1) | instskip(SKIP_1) | instid1(VALU_DEP_2)
	v_add3_u32 v5, v5, v7, v6
	v_mul_u32_u24_e32 v6, 0xb6, v3
	v_lshlrev_b64 v[3:4], 4, v[4:5]
	s_delay_alu instid0(VALU_DEP_2) | instskip(NEXT) | instid1(VALU_DEP_1)
	v_sub_nc_u32_e32 v78, v0, v6
	v_lshlrev_b32_e32 v46, 4, v78
	s_delay_alu instid0(VALU_DEP_3) | instskip(NEXT) | instid1(VALU_DEP_1)
	v_add_co_u32 v0, s0, s4, v3
	v_add_co_ci_u32_e64 v3, s0, s5, v4, s0
	s_mov_b32 s4, exec_lo
	s_delay_alu instid0(VALU_DEP_2) | instskip(NEXT) | instid1(VALU_DEP_1)
	v_add_co_u32 v0, s0, v0, v1
	v_add_co_ci_u32_e64 v1, s0, v3, v2, s0
	s_delay_alu instid0(VALU_DEP_2) | instskip(NEXT) | instid1(VALU_DEP_1)
	v_add_co_u32 v10, s0, v0, v46
	v_add_co_ci_u32_e64 v11, s0, 0, v1, s0
	s_clause 0x1
	global_load_b128 v[2:5], v[10:11], off
	global_load_b128 v[6:9], v[10:11], off offset:2912
	v_add_co_u32 v12, s0, 0x1000, v10
	s_delay_alu instid0(VALU_DEP_1) | instskip(SKIP_1) | instid1(VALU_DEP_1)
	v_add_co_ci_u32_e64 v13, s0, 0, v11, s0
	v_add_co_u32 v18, s0, 0x2000, v10
	v_add_co_ci_u32_e64 v19, s0, 0, v11, s0
	v_add_co_u32 v22, s0, 0x3000, v10
	s_delay_alu instid0(VALU_DEP_1) | instskip(SKIP_1) | instid1(VALU_DEP_1)
	v_add_co_ci_u32_e64 v23, s0, 0, v11, s0
	v_add_co_u32 v30, s0, 0x4000, v10
	v_add_co_ci_u32_e64 v31, s0, 0, v11, s0
	;; [unrolled: 5-line block ×3, first 2 shown]
	v_add_co_u32 v42, s0, 0x7000, v10
	s_delay_alu instid0(VALU_DEP_1)
	v_add_co_ci_u32_e64 v43, s0, 0, v11, s0
	s_clause 0x8
	global_load_b128 v[10:13], v[12:13], off offset:1728
	global_load_b128 v[14:17], v[18:19], off offset:544
	;; [unrolled: 1-line block ×9, first 2 shown]
	v_add_nc_u32_e32 v46, 0, v46
	s_waitcnt vmcnt(10)
	ds_store_b128 v46, v[2:5]
	s_waitcnt vmcnt(9)
	ds_store_b128 v46, v[6:9] offset:2912
	s_waitcnt vmcnt(8)
	ds_store_b128 v46, v[10:13] offset:5824
	;; [unrolled: 2-line block ×10, first 2 shown]
	v_cmpx_eq_u32_e32 0xb5, v78
	s_cbranch_execz .LBB0_14
; %bb.13:
	v_add_co_u32 v0, s0, 0x7000, v0
	s_delay_alu instid0(VALU_DEP_1)
	v_add_co_ci_u32_e64 v1, s0, 0, v1, s0
	v_mov_b32_e32 v4, 0
	v_mov_b32_e32 v78, 0xb5
	global_load_b128 v[0:3], v[0:1], off offset:3360
	s_waitcnt vmcnt(0)
	ds_store_b128 v4, v[0:3] offset:32032
.LBB0_14:
	s_or_b32 exec_lo, exec_lo, s4
.LBB0_15:
	s_delay_alu instid0(SALU_CYCLE_1)
	s_or_b32 exec_lo, exec_lo, s1
	v_lshlrev_b32_e32 v0, 4, v78
	s_waitcnt lgkmcnt(0)
	s_barrier
	buffer_gl0_inv
	s_add_u32 s1, s8, 0x7d00
	v_add_nc_u32_e32 v250, 0, v0
	v_sub_nc_u32_e32 v10, 0, v0
	s_addc_u32 s4, s9, 0
	s_mov_b32 s5, exec_lo
                                        ; implicit-def: $vgpr4_vgpr5
	ds_load_b64 v[6:7], v250
	ds_load_b64 v[8:9], v10 offset:32032
	s_waitcnt lgkmcnt(0)
	v_add_f64 v[0:1], v[6:7], v[8:9]
	v_add_f64 v[2:3], v[6:7], -v[8:9]
	v_cmpx_ne_u32_e32 0, v78
	s_xor_b32 s5, exec_lo, s5
	s_cbranch_execz .LBB0_17
; %bb.16:
	v_mov_b32_e32 v79, 0
	v_add_f64 v[13:14], v[6:7], v[8:9]
	v_add_f64 v[15:16], v[6:7], -v[8:9]
	s_delay_alu instid0(VALU_DEP_3) | instskip(NEXT) | instid1(VALU_DEP_1)
	v_lshlrev_b64 v[0:1], 4, v[78:79]
	v_add_co_u32 v0, s0, s1, v0
	s_delay_alu instid0(VALU_DEP_1)
	v_add_co_ci_u32_e64 v1, s0, s4, v1, s0
	global_load_b128 v[2:5], v[0:1], off
	ds_load_b64 v[0:1], v10 offset:32040
	ds_load_b64 v[11:12], v250 offset:8
	s_waitcnt lgkmcnt(0)
	v_add_f64 v[6:7], v[0:1], v[11:12]
	v_add_f64 v[0:1], v[11:12], -v[0:1]
	s_waitcnt vmcnt(0)
	v_fma_f64 v[8:9], v[15:16], v[4:5], v[13:14]
	v_fma_f64 v[11:12], -v[15:16], v[4:5], v[13:14]
	s_delay_alu instid0(VALU_DEP_3) | instskip(SKIP_1) | instid1(VALU_DEP_4)
	v_fma_f64 v[13:14], v[6:7], v[4:5], -v[0:1]
	v_fma_f64 v[4:5], v[6:7], v[4:5], v[0:1]
	v_fma_f64 v[0:1], -v[6:7], v[2:3], v[8:9]
	s_delay_alu instid0(VALU_DEP_4) | instskip(NEXT) | instid1(VALU_DEP_4)
	v_fma_f64 v[6:7], v[6:7], v[2:3], v[11:12]
	v_fma_f64 v[8:9], v[15:16], v[2:3], v[13:14]
	s_delay_alu instid0(VALU_DEP_4)
	v_fma_f64 v[2:3], v[15:16], v[2:3], v[4:5]
	v_dual_mov_b32 v4, v78 :: v_dual_mov_b32 v5, v79
	ds_store_b128 v10, v[6:9] offset:32032
.LBB0_17:
	s_and_not1_saveexec_b32 s0, s5
	s_cbranch_execz .LBB0_19
; %bb.18:
	v_mov_b32_e32 v8, 0
	ds_load_b128 v[4:7], v8 offset:16016
	s_waitcnt lgkmcnt(0)
	v_add_f64 v[11:12], v[4:5], v[4:5]
	v_mul_f64 v[13:14], v[6:7], -2.0
	v_mov_b32_e32 v4, 0
	v_mov_b32_e32 v5, 0
	ds_store_b128 v8, v[11:14] offset:16016
.LBB0_19:
	s_or_b32 exec_lo, exec_lo, s0
	v_lshlrev_b64 v[4:5], 4, v[4:5]
	ds_store_b128 v250, v[0:3]
	v_add_co_u32 v4, s0, s1, v4
	s_delay_alu instid0(VALU_DEP_1) | instskip(NEXT) | instid1(VALU_DEP_2)
	v_add_co_ci_u32_e64 v5, s0, s4, v5, s0
	v_add_co_u32 v11, s0, 0x1000, v4
	global_load_b128 v[6:9], v[4:5], off offset:2912
	v_add_co_ci_u32_e64 v12, s0, 0, v5, s0
	v_add_co_u32 v23, s0, 0x2000, v4
	s_delay_alu instid0(VALU_DEP_1)
	v_add_co_ci_u32_e64 v24, s0, 0, v5, s0
	global_load_b128 v[11:14], v[11:12], off offset:1728
	ds_load_b128 v[0:3], v250 offset:2912
	ds_load_b128 v[15:18], v10 offset:29120
	v_cmp_gt_u32_e64 s0, 0x5b, v78
	global_load_b128 v[19:22], v[23:24], off offset:544
	s_waitcnt lgkmcnt(0)
	v_add_f64 v[25:26], v[0:1], v[15:16]
	v_add_f64 v[27:28], v[17:18], v[2:3]
	v_add_f64 v[29:30], v[0:1], -v[15:16]
	v_add_f64 v[0:1], v[2:3], -v[17:18]
	s_waitcnt vmcnt(2)
	s_delay_alu instid0(VALU_DEP_2) | instskip(NEXT) | instid1(VALU_DEP_2)
	v_fma_f64 v[2:3], v[29:30], v[8:9], v[25:26]
	v_fma_f64 v[15:16], v[27:28], v[8:9], v[0:1]
	v_fma_f64 v[17:18], -v[29:30], v[8:9], v[25:26]
	v_fma_f64 v[8:9], v[27:28], v[8:9], -v[0:1]
	s_delay_alu instid0(VALU_DEP_4) | instskip(NEXT) | instid1(VALU_DEP_4)
	v_fma_f64 v[0:1], -v[27:28], v[6:7], v[2:3]
	v_fma_f64 v[2:3], v[29:30], v[6:7], v[15:16]
	s_delay_alu instid0(VALU_DEP_4) | instskip(NEXT) | instid1(VALU_DEP_4)
	v_fma_f64 v[15:16], v[27:28], v[6:7], v[17:18]
	v_fma_f64 v[17:18], v[29:30], v[6:7], v[8:9]
	ds_store_b128 v250, v[0:3] offset:2912
	ds_store_b128 v10, v[15:18] offset:29120
	ds_load_b128 v[0:3], v250 offset:5824
	ds_load_b128 v[6:9], v10 offset:26208
	global_load_b128 v[15:18], v[23:24], off offset:3456
	s_waitcnt lgkmcnt(0)
	v_add_f64 v[23:24], v[0:1], v[6:7]
	v_add_f64 v[25:26], v[8:9], v[2:3]
	v_add_f64 v[27:28], v[0:1], -v[6:7]
	v_add_f64 v[0:1], v[2:3], -v[8:9]
	s_waitcnt vmcnt(2)
	s_delay_alu instid0(VALU_DEP_2) | instskip(NEXT) | instid1(VALU_DEP_2)
	v_fma_f64 v[2:3], v[27:28], v[13:14], v[23:24]
	v_fma_f64 v[6:7], v[25:26], v[13:14], v[0:1]
	v_fma_f64 v[8:9], -v[27:28], v[13:14], v[23:24]
	v_fma_f64 v[13:14], v[25:26], v[13:14], -v[0:1]
	s_delay_alu instid0(VALU_DEP_4) | instskip(NEXT) | instid1(VALU_DEP_4)
	v_fma_f64 v[0:1], -v[25:26], v[11:12], v[2:3]
	v_fma_f64 v[2:3], v[27:28], v[11:12], v[6:7]
	s_delay_alu instid0(VALU_DEP_4) | instskip(NEXT) | instid1(VALU_DEP_4)
	v_fma_f64 v[6:7], v[25:26], v[11:12], v[8:9]
	v_fma_f64 v[8:9], v[27:28], v[11:12], v[13:14]
	ds_store_b128 v250, v[0:3] offset:5824
	ds_store_b128 v10, v[6:9] offset:26208
	ds_load_b128 v[0:3], v250 offset:8736
	ds_load_b128 v[6:9], v10 offset:23296
	s_waitcnt lgkmcnt(0)
	v_add_f64 v[11:12], v[0:1], v[6:7]
	v_add_f64 v[13:14], v[8:9], v[2:3]
	v_add_f64 v[23:24], v[0:1], -v[6:7]
	v_add_f64 v[0:1], v[2:3], -v[8:9]
	s_waitcnt vmcnt(1)
	s_delay_alu instid0(VALU_DEP_2) | instskip(NEXT) | instid1(VALU_DEP_2)
	v_fma_f64 v[2:3], v[23:24], v[21:22], v[11:12]
	v_fma_f64 v[6:7], v[13:14], v[21:22], v[0:1]
	v_fma_f64 v[8:9], -v[23:24], v[21:22], v[11:12]
	v_fma_f64 v[11:12], v[13:14], v[21:22], -v[0:1]
	s_delay_alu instid0(VALU_DEP_4) | instskip(NEXT) | instid1(VALU_DEP_4)
	v_fma_f64 v[0:1], -v[13:14], v[19:20], v[2:3]
	v_fma_f64 v[2:3], v[23:24], v[19:20], v[6:7]
	s_delay_alu instid0(VALU_DEP_4) | instskip(NEXT) | instid1(VALU_DEP_4)
	v_fma_f64 v[6:7], v[13:14], v[19:20], v[8:9]
	v_fma_f64 v[8:9], v[23:24], v[19:20], v[11:12]
	ds_store_b128 v250, v[0:3] offset:8736
	ds_store_b128 v10, v[6:9] offset:23296
	ds_load_b128 v[0:3], v250 offset:11648
	ds_load_b128 v[6:9], v10 offset:20384
	s_waitcnt lgkmcnt(0)
	v_add_f64 v[11:12], v[0:1], v[6:7]
	v_add_f64 v[13:14], v[8:9], v[2:3]
	v_add_f64 v[19:20], v[0:1], -v[6:7]
	v_add_f64 v[0:1], v[2:3], -v[8:9]
	s_waitcnt vmcnt(0)
	s_delay_alu instid0(VALU_DEP_2) | instskip(NEXT) | instid1(VALU_DEP_2)
	v_fma_f64 v[2:3], v[19:20], v[17:18], v[11:12]
	v_fma_f64 v[6:7], v[13:14], v[17:18], v[0:1]
	v_fma_f64 v[8:9], -v[19:20], v[17:18], v[11:12]
	v_fma_f64 v[11:12], v[13:14], v[17:18], -v[0:1]
	s_delay_alu instid0(VALU_DEP_4) | instskip(NEXT) | instid1(VALU_DEP_4)
	v_fma_f64 v[0:1], -v[13:14], v[15:16], v[2:3]
	v_fma_f64 v[2:3], v[19:20], v[15:16], v[6:7]
	s_delay_alu instid0(VALU_DEP_4) | instskip(NEXT) | instid1(VALU_DEP_4)
	v_fma_f64 v[6:7], v[13:14], v[15:16], v[8:9]
	v_fma_f64 v[8:9], v[19:20], v[15:16], v[11:12]
	ds_store_b128 v250, v[0:3] offset:11648
	ds_store_b128 v10, v[6:9] offset:20384
	s_and_saveexec_b32 s4, s0
	s_cbranch_execz .LBB0_21
; %bb.20:
	v_add_co_u32 v0, s1, 0x3000, v4
	s_delay_alu instid0(VALU_DEP_1)
	v_add_co_ci_u32_e64 v1, s1, 0, v5, s1
	global_load_b128 v[0:3], v[0:1], off offset:2272
	ds_load_b128 v[4:7], v250 offset:14560
	ds_load_b128 v[11:14], v10 offset:17472
	s_waitcnt lgkmcnt(0)
	v_add_f64 v[8:9], v[4:5], v[11:12]
	v_add_f64 v[15:16], v[13:14], v[6:7]
	v_add_f64 v[11:12], v[4:5], -v[11:12]
	v_add_f64 v[4:5], v[6:7], -v[13:14]
	s_waitcnt vmcnt(0)
	s_delay_alu instid0(VALU_DEP_2) | instskip(NEXT) | instid1(VALU_DEP_2)
	v_fma_f64 v[6:7], v[11:12], v[2:3], v[8:9]
	v_fma_f64 v[13:14], v[15:16], v[2:3], v[4:5]
	v_fma_f64 v[8:9], -v[11:12], v[2:3], v[8:9]
	v_fma_f64 v[17:18], v[15:16], v[2:3], -v[4:5]
	s_delay_alu instid0(VALU_DEP_4) | instskip(NEXT) | instid1(VALU_DEP_4)
	v_fma_f64 v[2:3], -v[15:16], v[0:1], v[6:7]
	v_fma_f64 v[4:5], v[11:12], v[0:1], v[13:14]
	s_delay_alu instid0(VALU_DEP_4) | instskip(NEXT) | instid1(VALU_DEP_4)
	v_fma_f64 v[6:7], v[15:16], v[0:1], v[8:9]
	v_fma_f64 v[8:9], v[11:12], v[0:1], v[17:18]
	ds_store_b128 v250, v[2:5] offset:14560
	ds_store_b128 v10, v[6:9] offset:17472
.LBB0_21:
	s_or_b32 exec_lo, exec_lo, s4
	s_waitcnt lgkmcnt(0)
	s_barrier
	buffer_gl0_inv
	s_barrier
	buffer_gl0_inv
	ds_load_b128 v[0:3], v250 offset:16016
	ds_load_b128 v[8:11], v250
	ds_load_b128 v[16:19], v250 offset:2912
	ds_load_b128 v[4:7], v250 offset:18928
	ds_load_b128 v[12:15], v250 offset:21840
	ds_load_b128 v[20:23], v250 offset:5824
	ds_load_b128 v[32:35], v250 offset:8736
	ds_load_b128 v[24:27], v250 offset:24752
	ds_load_b128 v[36:39], v250 offset:27664
	ds_load_b128 v[40:43], v250 offset:11648
	ds_load_b128 v[52:55], v250 offset:14560
	ds_load_b128 v[48:51], v250 offset:30576
	v_add_nc_u32_e32 v79, 0xb6, v78
	s_waitcnt lgkmcnt(0)
	s_barrier
	buffer_gl0_inv
	v_add_f64 v[44:45], v[8:9], -v[0:1]
	v_add_f64 v[46:47], v[10:11], -v[2:3]
	;; [unrolled: 1-line block ×12, first 2 shown]
	v_lshl_add_u32 v37, v78, 4, v250
	v_lshl_add_u32 v36, v78, 5, 0
	;; [unrolled: 1-line block ×3, first 2 shown]
	v_fma_f64 v[0:1], v[8:9], 2.0, -v[44:45]
	v_fma_f64 v[2:3], v[10:11], 2.0, -v[46:47]
	;; [unrolled: 1-line block ×12, first 2 shown]
	ds_store_b128 v37, v[0:3]
	ds_store_b128 v37, v[44:47] offset:16
	ds_store_b128 v38, v[48:51]
	ds_store_b128 v38, v[28:31] offset:16
	ds_store_b128 v36, v[20:23] offset:11648
	;; [unrolled: 1-line block ×7, first 2 shown]
	s_and_saveexec_b32 s1, s0
	s_cbranch_execz .LBB0_23
; %bb.22:
	ds_store_b128 v36, v[32:35] offset:29120
	ds_store_b128 v36, v[68:71] offset:29136
.LBB0_23:
	s_or_b32 exec_lo, exec_lo, s1
	v_cmp_gt_u32_e64 s0, 0x9a, v78
	s_waitcnt lgkmcnt(0)
	s_barrier
	buffer_gl0_inv
                                        ; implicit-def: $vgpr74_vgpr75
	s_and_saveexec_b32 s1, s0
	s_cbranch_execz .LBB0_25
; %bb.24:
	ds_load_b128 v[0:3], v250
	ds_load_b128 v[44:47], v250 offset:2464
	ds_load_b128 v[48:51], v250 offset:4928
	;; [unrolled: 1-line block ×12, first 2 shown]
.LBB0_25:
	s_or_b32 exec_lo, exec_lo, s1
	v_and_b32_e32 v251, 1, v78
	s_mov_b32 s24, 0x4267c47c
	s_mov_b32 s4, 0xe00740e9
	;; [unrolled: 1-line block ×4, first 2 shown]
	v_mul_u32_u24_e32 v36, 12, v251
	s_mov_b32 s25, 0xbfddbe06
	s_mov_b32 s5, 0x3fec55a7
	;; [unrolled: 1-line block ×4, first 2 shown]
	v_lshlrev_b32_e32 v36, 4, v36
	s_mov_b32 s16, 0x66966769
	s_mov_b32 s14, 0xebaa3ed8
	s_mov_b32 s18, 0xb2365da1
	s_mov_b32 s20, 0x2ef20147
	s_clause 0xb
	global_load_b128 v[84:87], v36, s[8:9]
	global_load_b128 v[88:91], v36, s[8:9] offset:176
	global_load_b128 v[92:95], v36, s[8:9] offset:16
	;; [unrolled: 1-line block ×11, first 2 shown]
	s_mov_b32 s17, 0xbfefc445
	s_mov_b32 s15, 0x3fbedb7d
	;; [unrolled: 1-line block ×24, first 2 shown]
	s_waitcnt vmcnt(11) lgkmcnt(11)
	v_mul_f64 v[82:83], v[44:45], v[86:87]
	s_waitcnt vmcnt(10) lgkmcnt(0)
	v_mul_f64 v[108:109], v[72:73], v[90:91]
	v_mul_f64 v[86:87], v[46:47], v[86:87]
	s_waitcnt vmcnt(9)
	v_mul_f64 v[110:111], v[48:49], v[94:95]
	v_mul_f64 v[90:91], v[74:75], v[90:91]
	s_waitcnt vmcnt(8)
	v_mul_f64 v[112:113], v[68:69], v[98:99]
	v_mul_f64 v[94:95], v[50:51], v[94:95]
	;; [unrolled: 1-line block ×3, first 2 shown]
	s_waitcnt vmcnt(6)
	v_mul_f64 v[114:115], v[32:33], v[106:107]
	s_waitcnt vmcnt(3)
	v_mul_f64 v[134:135], v[14:15], v[58:59]
	;; [unrolled: 2-line block ×4, first 2 shown]
	v_mul_f64 v[140:141], v[18:19], v[54:55]
	v_mul_f64 v[152:153], v[10:11], v[42:43]
	;; [unrolled: 1-line block ×3, first 2 shown]
	v_fma_f64 v[82:83], v[46:47], v[84:85], -v[82:83]
	v_fma_f64 v[46:47], v[74:75], v[88:89], -v[108:109]
	v_mul_f64 v[108:109], v[28:29], v[102:103]
	v_fma_f64 v[84:85], v[44:45], v[84:85], v[86:87]
	v_fma_f64 v[74:75], v[50:51], v[92:93], -v[110:111]
	v_fma_f64 v[44:45], v[72:73], v[88:89], v[90:91]
	v_fma_f64 v[50:51], v[70:71], v[96:97], -v[112:113]
	v_mul_f64 v[72:73], v[30:31], v[102:103]
	v_mul_f64 v[86:87], v[20:21], v[66:67]
	;; [unrolled: 1-line block ×4, first 2 shown]
	v_fma_f64 v[48:49], v[48:49], v[92:93], v[94:95]
	v_fma_f64 v[34:35], v[34:35], v[104:105], -v[114:115]
	v_mul_f64 v[94:95], v[22:23], v[66:67]
	v_mul_f64 v[106:107], v[12:13], v[58:59]
	;; [unrolled: 1-line block ×3, first 2 shown]
	v_fma_f64 v[42:43], v[12:13], v[56:57], v[134:135]
	v_fma_f64 v[38:39], v[16:17], v[52:53], v[140:141]
	v_add_f64 v[172:173], v[82:83], -v[46:47]
	v_add_f64 v[170:171], v[82:83], v[46:47]
	v_fma_f64 v[70:71], v[30:31], v[100:101], -v[108:109]
	v_fma_f64 v[30:31], v[68:69], v[96:97], v[98:99]
	v_add_f64 v[90:91], v[84:85], v[44:45]
	v_add_f64 v[184:185], v[74:75], -v[50:51]
	v_add_f64 v[98:99], v[84:85], -v[44:45]
	v_add_f64 v[180:181], v[74:75], v[50:51]
	v_mul_f64 v[108:109], v[16:17], v[54:55]
	v_fma_f64 v[62:63], v[28:29], v[100:101], v[72:73]
	v_fma_f64 v[66:67], v[22:23], v[64:65], -v[86:87]
	v_fma_f64 v[28:29], v[32:33], v[104:105], v[88:89]
	v_fma_f64 v[32:33], v[26:27], v[60:61], -v[102:103]
	;; [unrolled: 2-line block ×4, first 2 shown]
	v_fma_f64 v[40:41], v[8:9], v[40:41], v[152:153]
	v_mul_f64 v[92:93], v[172:173], s[24:25]
	v_mul_f64 v[96:97], v[170:171], s[4:5]
	;; [unrolled: 1-line block ×4, first 2 shown]
	v_add_f64 v[22:23], v[70:71], -v[34:35]
	v_add_f64 v[234:235], v[70:71], v[34:35]
	v_add_f64 v[68:69], v[48:49], v[30:31]
	v_add_f64 v[86:87], v[48:49], -v[30:31]
	v_mul_f64 v[72:73], v[180:181], s[10:11]
	scratch_store_b64 off, v[46:47], off    ; 8-byte Folded Spill
	v_mul_f64 v[46:47], v[184:185], s[12:13]
	v_mul_f64 v[154:155], v[172:173], s[16:17]
	;; [unrolled: 1-line block ×5, first 2 shown]
	v_fma_f64 v[58:59], v[18:19], v[52:53], -v[108:109]
	v_add_f64 v[60:61], v[62:63], v[28:29]
	v_add_f64 v[102:103], v[62:63], -v[28:29]
	v_add_f64 v[236:237], v[66:67], -v[32:33]
	v_add_f64 v[252:253], v[66:67], v[32:33]
	v_mul_f64 v[118:119], v[184:185], s[26:27]
	v_mul_f64 v[120:121], v[180:181], s[22:23]
	;; [unrolled: 1-line block ×4, first 2 shown]
	v_fma_f64 v[52:53], v[6:7], v[36:37], -v[138:139]
	v_add_f64 v[106:107], v[64:65], v[54:55]
	v_add_f64 v[110:111], v[64:65], -v[54:55]
	v_mul_f64 v[230:231], v[172:173], s[30:31]
	v_mul_f64 v[232:233], v[170:171], s[28:29]
	;; [unrolled: 1-line block ×4, first 2 shown]
	v_fma_f64 v[36:37], v[4:5], v[36:37], v[162:163]
	v_add_f64 v[138:139], v[42:43], v[38:39]
	v_mul_f64 v[162:163], v[184:185], s[40:41]
	v_fma_f64 v[26:27], v[90:91], s[4:5], -v[92:93]
	v_fma_f64 v[112:113], v[98:99], s[24:25], v[96:97]
	v_fma_f64 v[124:125], v[90:91], s[10:11], -v[130:131]
	v_fma_f64 v[128:129], v[98:99], s[12:13], v[132:133]
	v_mul_f64 v[100:101], v[22:23], s[16:17]
	v_mul_f64 v[104:105], v[234:235], s[14:15]
	;; [unrolled: 1-line block ×4, first 2 shown]
	scratch_store_b64 off, v[72:73], off offset:16 ; 8-byte Folded Spill
	v_fma_f64 v[20:21], v[86:87], s[12:13], v[72:73]
	v_fma_f64 v[14:15], v[68:69], s[10:11], -v[46:47]
	s_clause 0x1
	scratch_store_b64 off, v[92:93], off offset:24
	scratch_store_b64 off, v[46:47], off offset:8
	v_fma_f64 v[142:143], v[98:99], s[16:17], v[156:157]
	v_fma_f64 v[144:145], v[68:69], s[18:19], -v[114:115]
	v_fma_f64 v[148:149], v[86:87], s[20:21], v[116:117]
	v_add_f64 v[6:7], v[94:95], -v[58:59]
	v_add_f64 v[254:255], v[94:95], v[58:59]
	v_mul_f64 v[108:109], v[236:237], s[20:21]
	v_mul_f64 v[134:135], v[236:237], s[34:35]
	;; [unrolled: 1-line block ×5, first 2 shown]
	v_fma_f64 v[176:177], v[98:99], s[20:21], v[226:227]
	v_add_f64 v[4:5], v[56:57], -v[52:53]
	v_add_f64 v[46:47], v[56:57], v[52:53]
	v_mul_f64 v[166:167], v[22:23], s[38:39]
	v_mul_f64 v[168:169], v[234:235], s[4:5]
	v_fma_f64 v[202:203], v[90:91], s[28:29], -v[230:231]
	v_fma_f64 v[204:205], v[98:99], s[30:31], v[232:233]
	v_fma_f64 v[206:207], v[68:69], s[28:29], -v[158:159]
	v_fma_f64 v[212:213], v[86:87], s[34:35], v[160:161]
	v_mul_f64 v[186:187], v[236:237], s[16:17]
	v_fma_f64 v[228:229], v[68:69], s[14:15], -v[162:163]
	s_waitcnt_vscnt null, 0x0
	s_barrier
	buffer_gl0_inv
	v_add_f64 v[18:19], v[0:1], v[26:27]
	v_add_f64 v[24:25], v[2:3], v[112:113]
	v_fma_f64 v[26:27], v[90:91], s[14:15], -v[154:155]
	v_add_f64 v[146:147], v[0:1], v[124:125]
	v_add_f64 v[150:151], v[2:3], v[128:129]
	v_mul_f64 v[112:113], v[252:253], s[18:19]
	v_mul_f64 v[124:125], v[22:23], s[36:37]
	;; [unrolled: 1-line block ×3, first 2 shown]
	v_fma_f64 v[10:11], v[60:61], s[14:15], -v[100:101]
	v_fma_f64 v[164:165], v[60:61], s[22:23], -v[122:123]
	v_fma_f64 v[174:175], v[102:103], s[26:27], v[126:127]
	v_mul_f64 v[140:141], v[6:7], s[30:31]
	v_mul_f64 v[192:193], v[6:7], s[40:41]
	;; [unrolled: 1-line block ×3, first 2 shown]
	v_fma_f64 v[8:9], v[106:107], s[18:19], -v[108:109]
	v_fma_f64 v[194:195], v[110:111], s[34:35], v[136:137]
	v_mul_f64 v[190:191], v[6:7], s[12:13]
	v_mul_f64 v[196:197], v[254:255], s[10:11]
	v_add_f64 v[214:215], v[2:3], v[176:177]
	v_mul_f64 v[210:211], v[4:5], s[38:39]
	v_mul_f64 v[152:153], v[46:47], s[22:23]
	;; [unrolled: 1-line block ×4, first 2 shown]
	v_add_f64 v[238:239], v[0:1], v[202:203]
	v_add_f64 v[242:243], v[2:3], v[204:205]
	v_fma_f64 v[244:245], v[60:61], s[4:5], -v[166:167]
	v_mul_f64 v[202:203], v[252:253], s[14:15]
	v_mul_f64 v[204:205], v[254:255], s[22:23]
	;; [unrolled: 1-line block ×3, first 2 shown]
	v_fma_f64 v[88:89], v[106:107], s[14:15], -v[186:187]
	v_add_f64 v[12:13], v[14:15], v[18:19]
	v_fma_f64 v[14:15], v[102:103], s[16:17], v[104:105]
	v_add_f64 v[16:17], v[20:21], v[24:25]
	v_fma_f64 v[18:19], v[68:69], s[22:23], -v[118:119]
	v_add_f64 v[20:21], v[0:1], v[26:27]
	v_fma_f64 v[24:25], v[86:87], s[26:27], v[120:121]
	v_add_f64 v[26:27], v[2:3], v[142:143]
	v_add_f64 v[146:147], v[144:145], v[146:147]
	;; [unrolled: 1-line block ×3, first 2 shown]
	v_fma_f64 v[150:151], v[90:91], s[18:19], -v[224:225]
	v_add_f64 v[142:143], v[42:43], -v[38:39]
	v_mul_f64 v[144:145], v[254:255], s[28:29]
	v_fma_f64 v[216:217], v[138:139], s[28:29], -v[140:141]
	v_add_f64 v[214:215], v[212:213], v[214:215]
	v_mul_f64 v[212:213], v[4:5], s[30:31]
	v_add_f64 v[228:229], v[228:229], v[238:239]
	v_fma_f64 v[92:93], v[110:111], s[16:17], v[202:203]
	v_add_f64 v[10:11], v[10:11], v[12:13]
	v_fma_f64 v[12:13], v[110:111], s[20:21], v[112:113]
	v_add_f64 v[14:15], v[14:15], v[16:17]
	v_fma_f64 v[16:17], v[60:61], s[18:19], -v[124:125]
	v_add_f64 v[18:19], v[18:19], v[20:21]
	v_fma_f64 v[20:21], v[102:103], s[36:37], v[128:129]
	v_add_f64 v[24:25], v[24:25], v[26:27]
	v_fma_f64 v[26:27], v[106:107], s[28:29], -v[134:135]
	v_add_f64 v[188:189], v[164:165], v[146:147]
	v_add_f64 v[200:201], v[174:175], v[148:149]
	v_mul_f64 v[164:165], v[180:181], s[14:15]
	v_add_f64 v[208:209], v[0:1], v[150:151]
	v_add_f64 v[146:147], v[40:41], v[36:37]
	v_add_f64 v[150:151], v[40:41], -v[36:37]
	v_mul_f64 v[148:149], v[4:5], s[26:27]
	v_mul_f64 v[174:175], v[22:23], s[12:13]
	v_fma_f64 v[222:223], v[142:143], s[40:41], v[198:199]
	v_fma_f64 v[248:249], v[142:143], s[12:13], v[196:197]
	v_add_f64 v[8:9], v[8:9], v[10:11]
	v_fma_f64 v[10:11], v[142:143], s[30:31], v[144:145]
	v_add_f64 v[12:13], v[12:13], v[14:15]
	v_fma_f64 v[14:15], v[106:107], s[4:5], -v[178:179]
	v_add_f64 v[16:17], v[16:17], v[18:19]
	v_fma_f64 v[18:19], v[110:111], s[38:39], v[182:183]
	v_add_f64 v[20:21], v[20:21], v[24:25]
	v_fma_f64 v[24:25], v[138:139], s[14:15], -v[192:193]
	v_add_f64 v[26:27], v[26:27], v[188:189]
	v_add_f64 v[194:195], v[194:195], v[200:201]
	v_fma_f64 v[240:241], v[86:87], s[40:41], v[164:165]
	v_add_f64 v[206:207], v[206:207], v[208:209]
	v_fma_f64 v[208:209], v[102:103], s[38:39], v[168:169]
	v_mul_f64 v[200:201], v[6:7], s[42:43]
	v_mul_f64 v[188:189], v[236:237], s[42:43]
	v_fma_f64 v[246:247], v[146:147], s[22:23], -v[148:149]
	v_fma_f64 v[72:73], v[146:147], s[4:5], -v[210:211]
	v_fma_f64 v[238:239], v[60:61], s[10:11], -v[174:175]
	v_add_f64 v[8:9], v[216:217], v[8:9]
	v_fma_f64 v[216:217], v[150:151], s[26:27], v[152:153]
	v_add_f64 v[10:11], v[10:11], v[12:13]
	v_fma_f64 v[12:13], v[138:139], s[10:11], -v[190:191]
	v_add_f64 v[14:15], v[14:15], v[16:17]
	v_add_f64 v[20:21], v[18:19], v[20:21]
	;; [unrolled: 1-line block ×3, first 2 shown]
	v_fma_f64 v[26:27], v[150:151], s[38:39], v[218:219]
	v_add_f64 v[222:223], v[222:223], v[194:195]
	v_mul_f64 v[194:195], v[252:253], s[22:23]
	v_add_f64 v[240:241], v[240:241], v[242:243]
	v_fma_f64 v[242:243], v[102:103], s[12:13], v[176:177]
	v_add_f64 v[244:245], v[244:245], v[206:207]
	v_add_f64 v[214:215], v[208:209], v[214:215]
	v_mul_f64 v[206:207], v[6:7], s[38:39]
	v_mul_f64 v[208:209], v[254:255], s[4:5]
	v_add_f64 v[16:17], v[246:247], v[8:9]
	v_fma_f64 v[246:247], v[150:151], s[30:31], v[220:221]
	v_add_f64 v[18:19], v[216:217], v[10:11]
	v_mul_f64 v[216:217], v[4:5], s[44:45]
	v_add_f64 v[12:13], v[12:13], v[14:15]
	v_fma_f64 v[14:15], v[146:147], s[28:29], -v[212:213]
	v_add_f64 v[20:21], v[248:249], v[20:21]
	v_mul_f64 v[248:249], v[170:171], s[22:23]
	v_add_f64 v[8:9], v[72:73], v[24:25]
	v_fma_f64 v[24:25], v[106:107], s[22:23], -v[188:189]
	v_add_f64 v[10:11], v[26:27], v[222:223]
	v_add_f64 v[26:27], v[238:239], v[228:229]
	v_fma_f64 v[72:73], v[110:111], s[42:43], v[194:195]
	v_add_f64 v[238:239], v[242:243], v[240:241]
	v_fma_f64 v[240:241], v[138:139], s[22:23], -v[200:201]
	v_add_f64 v[88:89], v[88:89], v[244:245]
	v_fma_f64 v[242:243], v[142:143], s[42:43], v[204:205]
	v_add_f64 v[92:93], v[92:93], v[214:215]
	v_mul_f64 v[228:229], v[46:47], s[10:11]
	v_mul_f64 v[214:215], v[4:5], s[20:21]
	;; [unrolled: 1-line block ×5, first 2 shown]
	v_add_f64 v[12:13], v[14:15], v[12:13]
	v_add_f64 v[14:15], v[246:247], v[20:21]
	v_mul_f64 v[246:247], v[172:173], s[26:27]
	v_add_f64 v[20:21], v[24:25], v[26:27]
	v_fma_f64 v[24:25], v[138:139], s[4:5], -v[206:207]
	v_add_f64 v[26:27], v[72:73], v[238:239]
	v_fma_f64 v[72:73], v[142:143], s[38:39], v[208:209]
	v_add_f64 v[88:89], v[240:241], v[88:89]
	v_fma_f64 v[238:239], v[146:147], s[10:11], -v[216:217]
	v_add_f64 v[92:93], v[242:243], v[92:93]
	v_fma_f64 v[242:243], v[150:151], s[44:45], v[228:229]
	v_mul_f64 v[240:241], v[184:185], s[38:39]
	v_fma_f64 v[170:171], v[146:147], s[18:19], -v[214:215]
	v_fma_f64 v[172:173], v[150:151], s[20:21], v[222:223]
	v_mul_f64 v[184:185], v[254:255], s[18:19]
	v_add_f64 v[20:21], v[24:25], v[20:21]
	v_add_f64 v[72:73], v[72:73], v[26:27]
	;; [unrolled: 1-line block ×3, first 2 shown]
	v_fma_f64 v[88:89], v[90:91], s[22:23], -v[246:247]
	v_add_f64 v[26:27], v[242:243], v[92:93]
	v_fma_f64 v[92:93], v[98:99], s[26:27], v[248:249]
	v_mul_f64 v[238:239], v[22:23], s[30:31]
	v_mul_f64 v[242:243], v[234:235], s[28:29]
	;; [unrolled: 1-line block ×4, first 2 shown]
	v_add_f64 v[20:21], v[170:171], v[20:21]
	v_fma_f64 v[170:171], v[86:87], s[38:39], v[244:245]
	v_add_f64 v[22:23], v[172:173], v[72:73]
	v_fma_f64 v[72:73], v[68:69], s[4:5], -v[240:241]
	v_mul_f64 v[172:173], v[46:47], s[14:15]
	v_add_f64 v[88:89], v[0:1], v[88:89]
	v_add_f64 v[92:93], v[2:3], v[92:93]
	s_delay_alu instid0(VALU_DEP_2) | instskip(SKIP_1) | instid1(VALU_DEP_3)
	v_add_f64 v[72:73], v[72:73], v[88:89]
	v_fma_f64 v[88:89], v[60:61], s[28:29], -v[238:239]
	v_add_f64 v[92:93], v[170:171], v[92:93]
	v_fma_f64 v[170:171], v[102:103], s[30:31], v[242:243]
	s_delay_alu instid0(VALU_DEP_3) | instskip(SKIP_1) | instid1(VALU_DEP_3)
	v_add_f64 v[6:7], v[88:89], v[72:73]
	v_fma_f64 v[72:73], v[106:107], s[10:11], -v[234:235]
	v_add_f64 v[88:89], v[170:171], v[92:93]
	v_fma_f64 v[92:93], v[110:111], s[44:45], v[236:237]
	v_mul_f64 v[170:171], v[4:5], s[40:41]
	s_delay_alu instid0(VALU_DEP_4) | instskip(SKIP_1) | instid1(VALU_DEP_4)
	v_add_f64 v[4:5], v[72:73], v[6:7]
	v_fma_f64 v[6:7], v[138:139], s[18:19], -v[180:181]
	v_add_f64 v[72:73], v[92:93], v[88:89]
	v_fma_f64 v[88:89], v[142:143], s[20:21], v[184:185]
	s_delay_alu instid0(VALU_DEP_3) | instskip(SKIP_1) | instid1(VALU_DEP_3)
	v_add_f64 v[4:5], v[6:7], v[4:5]
	v_fma_f64 v[6:7], v[146:147], s[14:15], -v[170:171]
	v_add_f64 v[46:47], v[88:89], v[72:73]
	v_fma_f64 v[72:73], v[150:151], s[40:41], v[172:173]
	s_delay_alu instid0(VALU_DEP_3) | instskip(NEXT) | instid1(VALU_DEP_2)
	v_add_f64 v[4:5], v[6:7], v[4:5]
	v_add_f64 v[6:7], v[72:73], v[46:47]
	s_and_saveexec_b32 s1, s0
	s_cbranch_execz .LBB0_27
; %bb.26:
	v_mul_f64 v[92:93], v[90:91], s[28:29]
	v_mul_f64 v[46:47], v[98:99], s[26:27]
	;; [unrolled: 1-line block ×4, first 2 shown]
	s_delay_alu instid0(VALU_DEP_4) | instskip(SKIP_2) | instid1(VALU_DEP_4)
	v_add_f64 v[92:93], v[92:93], v[230:231]
	v_mul_f64 v[230:231], v[98:99], s[20:21]
	v_add_f64 v[46:47], v[248:249], -v[46:47]
	v_add_f64 v[72:73], v[72:73], v[246:247]
	v_add_f64 v[88:89], v[232:233], -v[88:89]
	v_add_f64 v[232:233], v[0:1], v[84:85]
	v_add_f64 v[226:227], v[226:227], -v[230:231]
	v_mul_f64 v[230:231], v[90:91], s[18:19]
	v_add_f64 v[46:47], v[2:3], v[46:47]
	v_add_f64 v[72:73], v[0:1], v[72:73]
	;; [unrolled: 1-line block ×5, first 2 shown]
	v_mul_f64 v[230:231], v[98:99], s[16:17]
	s_delay_alu instid0(VALU_DEP_3) | instskip(NEXT) | instid1(VALU_DEP_2)
	v_add_f64 v[48:49], v[48:49], v[62:63]
	v_add_f64 v[156:157], v[156:157], -v[230:231]
	v_mul_f64 v[230:231], v[90:91], s[14:15]
	s_delay_alu instid0(VALU_DEP_3) | instskip(NEXT) | instid1(VALU_DEP_3)
	v_add_f64 v[48:49], v[48:49], v[64:65]
	v_add_f64 v[156:157], v[2:3], v[156:157]
	s_delay_alu instid0(VALU_DEP_3) | instskip(SKIP_3) | instid1(VALU_DEP_3)
	v_add_f64 v[154:155], v[230:231], v[154:155]
	v_mul_f64 v[230:231], v[98:99], s[12:13]
	v_mul_f64 v[98:99], v[98:99], s[24:25]
	v_add_f64 v[42:43], v[48:49], v[42:43]
	v_add_f64 v[132:133], v[132:133], -v[230:231]
	s_delay_alu instid0(VALU_DEP_3) | instskip(SKIP_4) | instid1(VALU_DEP_3)
	v_add_f64 v[96:97], v[96:97], -v[98:99]
	scratch_load_b64 v[98:99], off, off offset:24 ; 8-byte Folded Reload
	v_mul_f64 v[230:231], v[90:91], s[10:11]
	v_mul_f64 v[90:91], v[90:91], s[4:5]
	v_add_f64 v[40:41], v[42:43], v[40:41]
	v_add_f64 v[130:131], v[230:231], v[130:131]
	;; [unrolled: 1-line block ×6, first 2 shown]
	v_mul_f64 v[96:97], v[110:111], s[44:45]
	v_add_f64 v[36:37], v[40:41], v[36:37]
	v_add_f64 v[84:85], v[0:1], v[130:131]
	;; [unrolled: 1-line block ×4, first 2 shown]
	v_mul_f64 v[92:93], v[60:61], s[28:29]
	v_add_f64 v[96:97], v[236:237], -v[96:97]
	v_mul_f64 v[236:237], v[106:107], s[10:11]
	v_add_f64 v[36:37], v[36:37], v[38:39]
	s_delay_alu instid0(VALU_DEP_4) | instskip(NEXT) | instid1(VALU_DEP_3)
	v_add_f64 v[92:93], v[92:93], v[238:239]
	v_add_f64 v[234:235], v[236:237], v[234:235]
	v_mul_f64 v[236:237], v[142:143], s[20:21]
	s_delay_alu instid0(VALU_DEP_4) | instskip(NEXT) | instid1(VALU_DEP_2)
	v_add_f64 v[36:37], v[36:37], v[54:55]
	v_add_f64 v[184:185], v[184:185], -v[236:237]
	s_delay_alu instid0(VALU_DEP_2) | instskip(NEXT) | instid1(VALU_DEP_1)
	v_add_f64 v[28:29], v[36:37], v[28:29]
	v_add_f64 v[28:29], v[28:29], v[30:31]
	scratch_load_b64 v[30:31], off, off     ; 8-byte Folded Reload
	v_add_f64 v[28:29], v[28:29], v[44:45]
	s_waitcnt vmcnt(1)
	v_add_f64 v[90:91], v[90:91], v[98:99]
	v_add_f64 v[98:99], v[2:3], v[226:227]
	v_mul_f64 v[2:3], v[68:69], s[4:5]
	s_delay_alu instid0(VALU_DEP_3) | instskip(SKIP_1) | instid1(VALU_DEP_3)
	v_add_f64 v[226:227], v[0:1], v[90:91]
	v_mul_f64 v[0:1], v[86:87], s[38:39]
	v_add_f64 v[2:3], v[2:3], v[240:241]
	v_mul_f64 v[90:91], v[102:103], s[30:31]
	s_delay_alu instid0(VALU_DEP_3) | instskip(NEXT) | instid1(VALU_DEP_3)
	v_add_f64 v[0:1], v[244:245], -v[0:1]
	v_add_f64 v[2:3], v[2:3], v[72:73]
	s_delay_alu instid0(VALU_DEP_3) | instskip(SKIP_1) | instid1(VALU_DEP_4)
	v_add_f64 v[90:91], v[242:243], -v[90:91]
	v_mul_f64 v[72:73], v[150:151], s[40:41]
	v_add_f64 v[0:1], v[0:1], v[46:47]
	v_mul_f64 v[46:47], v[138:139], s[18:19]
	v_add_f64 v[2:3], v[92:93], v[2:3]
	s_delay_alu instid0(VALU_DEP_4)
	v_add_f64 v[72:73], v[172:173], -v[72:73]
	v_mul_f64 v[92:93], v[60:61], s[22:23]
	v_add_f64 v[0:1], v[90:91], v[0:1]
	v_add_f64 v[46:47], v[46:47], v[180:181]
	;; [unrolled: 1-line block ×3, first 2 shown]
	v_mul_f64 v[90:91], v[146:147], s[14:15]
	v_add_f64 v[92:93], v[92:93], v[122:123]
	v_mul_f64 v[122:123], v[142:143], s[38:39]
	v_add_f64 v[0:1], v[96:97], v[0:1]
	;; [unrolled: 2-line block ×3, first 2 shown]
	v_add_f64 v[90:91], v[90:91], v[170:171]
	v_add_f64 v[122:123], v[208:209], -v[122:123]
	v_add_f64 v[0:1], v[184:185], v[0:1]
	v_add_f64 v[96:97], v[136:137], -v[96:97]
	s_delay_alu instid0(VALU_DEP_2) | instskip(SKIP_4) | instid1(VALU_DEP_3)
	v_add_f64 v[2:3], v[72:73], v[0:1]
	v_add_f64 v[0:1], v[90:91], v[46:47]
	v_mul_f64 v[46:47], v[86:87], s[20:21]
	v_mul_f64 v[72:73], v[68:69], s[18:19]
	;; [unrolled: 1-line block ×3, first 2 shown]
	v_add_f64 v[46:47], v[116:117], -v[46:47]
	s_delay_alu instid0(VALU_DEP_3) | instskip(NEXT) | instid1(VALU_DEP_3)
	v_add_f64 v[72:73], v[72:73], v[114:115]
	v_add_f64 v[90:91], v[126:127], -v[90:91]
	v_mul_f64 v[114:115], v[106:107], s[28:29]
	v_mul_f64 v[116:117], v[142:143], s[40:41]
	v_add_f64 v[46:47], v[46:47], v[82:83]
	v_add_f64 v[72:73], v[72:73], v[84:85]
	v_mul_f64 v[82:83], v[138:139], s[14:15]
	v_add_f64 v[114:115], v[114:115], v[134:135]
	v_add_f64 v[116:117], v[198:199], -v[116:117]
	v_mul_f64 v[84:85], v[150:151], s[38:39]
	v_add_f64 v[46:47], v[90:91], v[46:47]
	v_add_f64 v[72:73], v[92:93], v[72:73]
	;; [unrolled: 1-line block ×3, first 2 shown]
	v_mul_f64 v[90:91], v[146:147], s[4:5]
	v_mul_f64 v[92:93], v[60:61], s[18:19]
	v_add_f64 v[84:85], v[218:219], -v[84:85]
	v_add_f64 v[46:47], v[96:97], v[46:47]
	v_add_f64 v[72:73], v[114:115], v[72:73]
	v_mul_f64 v[96:97], v[110:111], s[38:39]
	v_add_f64 v[90:91], v[90:91], v[210:211]
	v_add_f64 v[92:93], v[92:93], v[124:125]
	v_mul_f64 v[114:115], v[106:107], s[4:5]
	v_add_f64 v[46:47], v[116:117], v[46:47]
	v_add_f64 v[72:73], v[82:83], v[72:73]
	v_add_f64 v[96:97], v[182:183], -v[96:97]
	v_mul_f64 v[116:117], v[142:143], s[12:13]
	v_add_f64 v[114:115], v[114:115], v[178:179]
	v_add_f64 v[84:85], v[84:85], v[46:47]
	;; [unrolled: 1-line block ×3, first 2 shown]
	v_mul_f64 v[46:47], v[86:87], s[26:27]
	v_mul_f64 v[72:73], v[68:69], s[22:23]
	;; [unrolled: 1-line block ×3, first 2 shown]
	v_add_f64 v[116:117], v[196:197], -v[116:117]
	s_delay_alu instid0(VALU_DEP_4) | instskip(NEXT) | instid1(VALU_DEP_4)
	v_add_f64 v[46:47], v[120:121], -v[46:47]
	v_add_f64 v[72:73], v[72:73], v[118:119]
	s_delay_alu instid0(VALU_DEP_4) | instskip(SKIP_4) | instid1(VALU_DEP_4)
	v_add_f64 v[90:91], v[128:129], -v[90:91]
	v_mul_f64 v[118:119], v[138:139], s[10:11]
	v_mul_f64 v[120:121], v[142:143], s[42:43]
	v_add_f64 v[46:47], v[46:47], v[156:157]
	v_add_f64 v[72:73], v[72:73], v[130:131]
	;; [unrolled: 1-line block ×3, first 2 shown]
	s_delay_alu instid0(VALU_DEP_4) | instskip(NEXT) | instid1(VALU_DEP_4)
	v_add_f64 v[120:121], v[204:205], -v[120:121]
	v_add_f64 v[46:47], v[90:91], v[46:47]
	s_delay_alu instid0(VALU_DEP_4) | instskip(SKIP_2) | instid1(VALU_DEP_4)
	v_add_f64 v[72:73], v[92:93], v[72:73]
	v_mul_f64 v[90:91], v[150:151], s[30:31]
	v_mul_f64 v[92:93], v[146:147], s[28:29]
	v_add_f64 v[46:47], v[96:97], v[46:47]
	s_delay_alu instid0(VALU_DEP_4) | instskip(NEXT) | instid1(VALU_DEP_4)
	v_add_f64 v[72:73], v[114:115], v[72:73]
	v_add_f64 v[90:91], v[220:221], -v[90:91]
	s_delay_alu instid0(VALU_DEP_4)
	v_add_f64 v[96:97], v[92:93], v[212:213]
	v_mul_f64 v[114:115], v[60:61], s[4:5]
	v_add_f64 v[46:47], v[116:117], v[46:47]
	v_add_f64 v[72:73], v[118:119], v[72:73]
	v_mul_f64 v[116:117], v[110:111], s[16:17]
	v_mul_f64 v[118:119], v[106:107], s[14:15]
	v_add_f64 v[114:115], v[114:115], v[166:167]
	v_add_f64 v[92:93], v[90:91], v[46:47]
	;; [unrolled: 1-line block ×3, first 2 shown]
	v_mul_f64 v[46:47], v[86:87], s[34:35]
	v_mul_f64 v[72:73], v[68:69], s[28:29]
	;; [unrolled: 1-line block ×3, first 2 shown]
	v_add_f64 v[116:117], v[202:203], -v[116:117]
	v_add_f64 v[118:119], v[118:119], v[186:187]
	v_add_f64 v[46:47], v[160:161], -v[46:47]
	v_add_f64 v[72:73], v[72:73], v[158:159]
	v_add_f64 v[96:97], v[168:169], -v[96:97]
	s_delay_alu instid0(VALU_DEP_3) | instskip(NEXT) | instid1(VALU_DEP_3)
	v_add_f64 v[46:47], v[46:47], v[98:99]
	v_add_f64 v[72:73], v[72:73], v[132:133]
	v_mul_f64 v[98:99], v[138:139], s[22:23]
	s_delay_alu instid0(VALU_DEP_3) | instskip(NEXT) | instid1(VALU_DEP_3)
	v_add_f64 v[46:47], v[96:97], v[46:47]
	v_add_f64 v[72:73], v[114:115], v[72:73]
	s_delay_alu instid0(VALU_DEP_3)
	v_add_f64 v[98:99], v[98:99], v[200:201]
	v_mul_f64 v[96:97], v[150:151], s[44:45]
	v_mul_f64 v[114:115], v[146:147], s[10:11]
	v_add_f64 v[46:47], v[116:117], v[46:47]
	v_add_f64 v[72:73], v[118:119], v[72:73]
	v_mul_f64 v[116:117], v[60:61], s[10:11]
	v_add_f64 v[96:97], v[228:229], -v[96:97]
	v_add_f64 v[114:115], v[114:115], v[216:217]
	v_mul_f64 v[118:119], v[110:111], s[42:43]
	v_mul_f64 v[60:61], v[60:61], s[14:15]
	v_add_f64 v[46:47], v[120:121], v[46:47]
	v_add_f64 v[72:73], v[98:99], v[72:73]
	;; [unrolled: 1-line block ×3, first 2 shown]
	v_mul_f64 v[120:121], v[106:107], s[22:23]
	v_add_f64 v[118:119], v[194:195], -v[118:119]
	v_add_f64 v[60:61], v[60:61], v[100:101]
	v_mul_f64 v[100:101], v[142:143], s[30:31]
	v_add_f64 v[98:99], v[96:97], v[46:47]
	v_add_f64 v[96:97], v[114:115], v[72:73]
	v_mul_f64 v[46:47], v[86:87], s[40:41]
	v_mul_f64 v[72:73], v[68:69], s[14:15]
	;; [unrolled: 1-line block ×3, first 2 shown]
	v_add_f64 v[120:121], v[120:121], v[188:189]
	v_mul_f64 v[68:69], v[68:69], s[10:11]
	v_add_f64 v[100:101], v[144:145], -v[100:101]
	v_add_f64 v[46:47], v[164:165], -v[46:47]
	v_add_f64 v[72:73], v[72:73], v[162:163]
	v_add_f64 v[114:115], v[176:177], -v[114:115]
	s_delay_alu instid0(VALU_DEP_3) | instskip(NEXT) | instid1(VALU_DEP_3)
	v_add_f64 v[46:47], v[46:47], v[88:89]
	v_add_f64 v[72:73], v[72:73], v[154:155]
	v_mul_f64 v[88:89], v[138:139], s[4:5]
	s_delay_alu instid0(VALU_DEP_3) | instskip(NEXT) | instid1(VALU_DEP_3)
	v_add_f64 v[46:47], v[114:115], v[46:47]
	v_add_f64 v[72:73], v[116:117], v[72:73]
	s_delay_alu instid0(VALU_DEP_3) | instskip(SKIP_4) | instid1(VALU_DEP_4)
	v_add_f64 v[88:89], v[88:89], v[206:207]
	v_mul_f64 v[114:115], v[150:151], s[20:21]
	v_mul_f64 v[116:117], v[146:147], s[18:19]
	v_add_f64 v[46:47], v[118:119], v[46:47]
	v_add_f64 v[72:73], v[120:121], v[72:73]
	v_add_f64 v[114:115], v[222:223], -v[114:115]
	s_delay_alu instid0(VALU_DEP_4) | instskip(NEXT) | instid1(VALU_DEP_4)
	v_add_f64 v[118:119], v[116:117], v[214:215]
	v_add_f64 v[46:47], v[122:123], v[46:47]
	s_delay_alu instid0(VALU_DEP_4) | instskip(SKIP_1) | instid1(VALU_DEP_3)
	v_add_f64 v[72:73], v[88:89], v[72:73]
	v_mul_f64 v[88:89], v[106:107], s[18:19]
	v_add_f64 v[116:117], v[114:115], v[46:47]
	s_delay_alu instid0(VALU_DEP_3) | instskip(SKIP_4) | instid1(VALU_DEP_2)
	v_add_f64 v[114:115], v[118:119], v[72:73]
	scratch_load_b64 v[72:73], off, off offset:16 ; 8-byte Folded Reload
	v_mul_f64 v[46:47], v[86:87], s[12:13]
	v_mul_f64 v[86:87], v[110:111], s[20:21]
	v_add_f64 v[88:89], v[88:89], v[108:109]
	v_add_f64 v[86:87], v[112:113], -v[86:87]
	s_waitcnt vmcnt(0)
	s_delay_alu instid0(VALU_DEP_4)
	v_add_f64 v[46:47], v[72:73], -v[46:47]
	scratch_load_b64 v[72:73], off, off offset:8 ; 8-byte Folded Reload
	v_add_f64 v[46:47], v[46:47], v[224:225]
	s_waitcnt vmcnt(0)
	v_add_f64 v[68:69], v[68:69], v[72:73]
	v_mul_f64 v[72:73], v[102:103], s[16:17]
	v_mul_f64 v[102:103], v[138:139], s[28:29]
	s_delay_alu instid0(VALU_DEP_3) | instskip(NEXT) | instid1(VALU_DEP_3)
	v_add_f64 v[68:69], v[68:69], v[226:227]
	v_add_f64 v[72:73], v[104:105], -v[72:73]
	s_delay_alu instid0(VALU_DEP_3) | instskip(NEXT) | instid1(VALU_DEP_3)
	v_add_f64 v[102:103], v[102:103], v[140:141]
	v_add_f64 v[60:61], v[60:61], v[68:69]
	s_delay_alu instid0(VALU_DEP_3) | instskip(SKIP_2) | instid1(VALU_DEP_4)
	v_add_f64 v[46:47], v[72:73], v[46:47]
	v_mul_f64 v[68:69], v[150:151], s[26:27]
	v_mul_f64 v[72:73], v[146:147], s[22:23]
	v_add_f64 v[60:61], v[88:89], v[60:61]
	s_delay_alu instid0(VALU_DEP_4) | instskip(NEXT) | instid1(VALU_DEP_4)
	v_add_f64 v[46:47], v[86:87], v[46:47]
	v_add_f64 v[68:69], v[152:153], -v[68:69]
	s_delay_alu instid0(VALU_DEP_4) | instskip(NEXT) | instid1(VALU_DEP_4)
	v_add_f64 v[72:73], v[72:73], v[148:149]
	v_add_f64 v[60:61], v[102:103], v[60:61]
	s_delay_alu instid0(VALU_DEP_4) | instskip(NEXT) | instid1(VALU_DEP_2)
	v_add_f64 v[46:47], v[100:101], v[46:47]
	v_add_f64 v[86:87], v[72:73], v[60:61]
	s_delay_alu instid0(VALU_DEP_2) | instskip(SKIP_1) | instid1(VALU_DEP_1)
	v_add_f64 v[88:89], v[68:69], v[46:47]
	v_add_f64 v[46:47], v[230:231], v[74:75]
	v_add_f64 v[46:47], v[46:47], v[70:71]
	s_delay_alu instid0(VALU_DEP_1) | instskip(NEXT) | instid1(VALU_DEP_1)
	v_add_f64 v[46:47], v[46:47], v[66:67]
	v_add_f64 v[46:47], v[46:47], v[94:95]
	s_delay_alu instid0(VALU_DEP_1) | instskip(NEXT) | instid1(VALU_DEP_1)
	v_add_f64 v[46:47], v[46:47], v[56:57]
	v_add_f64 v[42:43], v[46:47], v[52:53]
	;; [unrolled: 3-line block ×4, first 2 shown]
	s_delay_alu instid0(VALU_DEP_1) | instskip(SKIP_1) | instid1(VALU_DEP_1)
	v_add_f64 v[30:31], v[32:33], v[30:31]
	v_lshrrev_b32_e32 v32, 1, v78
	v_mul_u32_u24_e32 v32, 26, v32
	s_delay_alu instid0(VALU_DEP_1) | instskip(NEXT) | instid1(VALU_DEP_1)
	v_or_b32_e32 v32, v32, v251
	v_lshl_add_u32 v32, v32, 4, 0
	ds_store_b128 v32, v[82:85] offset:64
	ds_store_b128 v32, v[90:93] offset:96
	;; [unrolled: 1-line block ×11, first 2 shown]
	ds_store_b128 v32, v[28:31]
	ds_store_b128 v32, v[16:19] offset:384
.LBB0_27:
	s_or_b32 exec_lo, exec_lo, s1
	s_waitcnt lgkmcnt(0)
	s_barrier
	buffer_gl0_inv
	ds_load_b128 v[28:31], v250
	ds_load_b128 v[48:51], v250 offset:4576
	ds_load_b128 v[44:47], v250 offset:9152
	;; [unrolled: 1-line block ×6, first 2 shown]
	v_cmp_gt_u32_e64 s0, 0x68, v78
                                        ; implicit-def: $vgpr2_vgpr3
	s_delay_alu instid0(VALU_DEP_1)
	s_and_saveexec_b32 s1, s0
	s_cbranch_execz .LBB0_29
; %bb.28:
	ds_load_b128 v[4:7], v250 offset:2912
	ds_load_b128 v[20:23], v250 offset:7488
	;; [unrolled: 1-line block ×7, first 2 shown]
.LBB0_29:
	s_or_b32 exec_lo, exec_lo, s1
	v_and_b32_e32 v56, 0xff, v78
	s_mov_b32 s10, 0x37e14327
	s_mov_b32 s12, 0xe976ee23
	;; [unrolled: 1-line block ×4, first 2 shown]
	v_mul_lo_u16 v56, 0x4f, v56
	s_mov_b32 s4, 0x429ad128
	s_mov_b32 s5, 0xbfebfeb5
	;; [unrolled: 1-line block ×4, first 2 shown]
	v_lshrrev_b16 v98, 11, v56
	s_mov_b32 s14, 0xaaaaaaaa
	s_mov_b32 s22, 0xb247c609
	;; [unrolled: 1-line block ×4, first 2 shown]
	v_mul_lo_u16 v56, v98, 26
	s_mov_b32 s23, 0xbfd5d0dc
	s_mov_b32 s17, 0x3fe77f67
	;; [unrolled: 1-line block ×4, first 2 shown]
	v_sub_nc_u16 v56, v78, v56
	s_mov_b32 s20, s16
	s_mov_b32 s24, s22
	;; [unrolled: 1-line block ×4, first 2 shown]
	v_and_b32_e32 v99, 0xff, v56
	s_delay_alu instid0(VALU_DEP_1) | instskip(NEXT) | instid1(VALU_DEP_1)
	v_mul_u32_u24_e32 v56, 6, v99
	v_lshlrev_b32_e32 v82, 4, v56
	s_clause 0x5
	global_load_b128 v[56:59], v82, s[8:9] offset:384
	global_load_b128 v[60:63], v82, s[8:9] offset:400
	;; [unrolled: 1-line block ×6, first 2 shown]
	s_waitcnt vmcnt(0) lgkmcnt(0)
	s_barrier
	buffer_gl0_inv
	v_mul_f64 v[86:87], v[50:51], v[58:59]
	v_mul_f64 v[58:59], v[48:49], v[58:59]
	;; [unrolled: 1-line block ×12, first 2 shown]
	v_fma_f64 v[48:49], v[48:49], v[56:57], v[86:87]
	v_fma_f64 v[50:51], v[50:51], v[56:57], -v[58:59]
	v_fma_f64 v[44:45], v[44:45], v[60:61], v[88:89]
	v_fma_f64 v[46:47], v[46:47], v[60:61], -v[62:63]
	;; [unrolled: 2-line block ×6, first 2 shown]
	v_add_f64 v[56:57], v[48:49], v[52:53]
	v_add_f64 v[58:59], v[50:51], v[54:55]
	;; [unrolled: 1-line block ×4, first 2 shown]
	v_add_f64 v[40:41], v[44:45], -v[40:41]
	v_add_f64 v[42:43], v[46:47], -v[42:43]
	v_add_f64 v[44:45], v[36:37], v[32:33]
	v_add_f64 v[46:47], v[38:39], v[34:35]
	v_add_f64 v[32:33], v[32:33], -v[36:37]
	v_add_f64 v[34:35], v[34:35], -v[38:39]
	;; [unrolled: 1-line block ×4, first 2 shown]
	v_add_f64 v[48:49], v[60:61], v[56:57]
	v_add_f64 v[50:51], v[62:63], v[58:59]
	v_add_f64 v[52:53], v[56:57], -v[44:45]
	v_add_f64 v[54:55], v[58:59], -v[46:47]
	;; [unrolled: 1-line block ×6, first 2 shown]
	v_add_f64 v[40:41], v[32:33], v[40:41]
	v_add_f64 v[42:43], v[34:35], v[42:43]
	v_add_f64 v[32:33], v[36:37], -v[32:33]
	v_add_f64 v[34:35], v[38:39], -v[34:35]
	;; [unrolled: 1-line block ×4, first 2 shown]
	v_add_f64 v[48:49], v[44:45], v[48:49]
	v_add_f64 v[50:51], v[46:47], v[50:51]
	v_add_f64 v[44:45], v[44:45], -v[60:61]
	v_add_f64 v[46:47], v[46:47], -v[62:63]
	v_mul_f64 v[52:53], v[52:53], s[10:11]
	v_mul_f64 v[54:55], v[54:55], s[10:11]
	;; [unrolled: 1-line block ×6, first 2 shown]
	v_add_f64 v[36:37], v[40:41], v[36:37]
	v_add_f64 v[38:39], v[42:43], v[38:39]
	;; [unrolled: 1-line block ×4, first 2 shown]
	v_mul_f64 v[60:61], v[44:45], s[18:19]
	v_mul_f64 v[62:63], v[46:47], s[18:19]
	v_fma_f64 v[40:41], v[44:45], s[18:19], v[52:53]
	v_fma_f64 v[42:43], v[46:47], s[18:19], v[54:55]
	;; [unrolled: 1-line block ×4, first 2 shown]
	v_fma_f64 v[64:65], v[68:69], s[4:5], -v[64:65]
	v_fma_f64 v[66:67], v[70:71], s[4:5], -v[66:67]
	;; [unrolled: 1-line block ×6, first 2 shown]
	v_fma_f64 v[48:49], v[48:49], s[14:15], v[28:29]
	v_fma_f64 v[50:51], v[50:51], s[14:15], v[30:31]
	v_fma_f64 v[56:57], v[56:57], s[16:17], -v[60:61]
	v_fma_f64 v[58:59], v[58:59], s[16:17], -v[62:63]
	v_fma_f64 v[60:61], v[36:37], s[26:27], v[44:45]
	v_fma_f64 v[62:63], v[38:39], s[26:27], v[46:47]
	;; [unrolled: 1-line block ×6, first 2 shown]
	v_add_f64 v[68:69], v[40:41], v[48:49]
	v_add_f64 v[70:71], v[42:43], v[50:51]
	;; [unrolled: 1-line block ×6, first 2 shown]
	v_and_b32_e32 v56, 0xffff, v98
	v_lshlrev_b32_e32 v57, 4, v99
	s_delay_alu instid0(VALU_DEP_2) | instskip(NEXT) | instid1(VALU_DEP_1)
	v_mul_u32_u24_e32 v56, 0xb60, v56
	v_add3_u32 v56, 0, v56, v57
	v_add_f64 v[32:33], v[62:63], v[68:69]
	v_add_f64 v[34:35], v[70:71], -v[60:61]
	v_add_f64 v[36:37], v[66:67], v[52:53]
	v_add_f64 v[38:39], v[54:55], -v[64:65]
	v_add_f64 v[40:41], v[48:49], -v[44:45]
	v_add_f64 v[42:43], v[46:47], v[50:51]
	v_add_f64 v[44:45], v[44:45], v[48:49]
	v_add_f64 v[46:47], v[50:51], -v[46:47]
	v_add_f64 v[48:49], v[52:53], -v[66:67]
	v_add_f64 v[50:51], v[64:65], v[54:55]
	v_add_f64 v[52:53], v[68:69], -v[62:63]
	v_add_f64 v[54:55], v[60:61], v[70:71]
	ds_store_b128 v56, v[28:31]
	ds_store_b128 v56, v[32:35] offset:416
	ds_store_b128 v56, v[36:39] offset:832
	;; [unrolled: 1-line block ×6, first 2 shown]
	s_and_saveexec_b32 s1, s0
	s_cbranch_execz .LBB0_31
; %bb.30:
	v_and_b32_e32 v28, 0xffff, v79
	s_delay_alu instid0(VALU_DEP_1) | instskip(NEXT) | instid1(VALU_DEP_1)
	v_mul_u32_u24_e32 v28, 0x4ec5, v28
	v_lshrrev_b32_e32 v64, 19, v28
	s_delay_alu instid0(VALU_DEP_1) | instskip(NEXT) | instid1(VALU_DEP_1)
	v_mul_lo_u16 v28, v64, 26
	v_sub_nc_u16 v28, v79, v28
	s_delay_alu instid0(VALU_DEP_1) | instskip(NEXT) | instid1(VALU_DEP_1)
	v_and_b32_e32 v65, 0xffff, v28
	v_mul_u32_u24_e32 v28, 6, v65
	s_delay_alu instid0(VALU_DEP_1)
	v_lshlrev_b32_e32 v48, 4, v28
	s_clause 0x5
	global_load_b128 v[28:31], v48, s[8:9] offset:400
	global_load_b128 v[32:35], v48, s[8:9] offset:448
	;; [unrolled: 1-line block ×6, first 2 shown]
	s_waitcnt vmcnt(5)
	v_mul_f64 v[52:53], v[24:25], v[30:31]
	s_waitcnt vmcnt(4)
	v_mul_f64 v[54:55], v[16:17], v[34:35]
	;; [unrolled: 2-line block ×4, first 2 shown]
	v_mul_f64 v[30:31], v[26:27], v[30:31]
	v_mul_f64 v[34:35], v[18:19], v[34:35]
	;; [unrolled: 1-line block ×4, first 2 shown]
	s_waitcnt vmcnt(1)
	v_mul_f64 v[60:61], v[10:11], v[46:47]
	s_waitcnt vmcnt(0)
	v_mul_f64 v[62:63], v[14:15], v[50:51]
	v_mul_f64 v[50:51], v[12:13], v[50:51]
	;; [unrolled: 1-line block ×3, first 2 shown]
	v_fma_f64 v[26:27], v[26:27], v[28:29], -v[52:53]
	v_fma_f64 v[18:19], v[18:19], v[32:33], -v[54:55]
	;; [unrolled: 1-line block ×4, first 2 shown]
	v_fma_f64 v[24:25], v[24:25], v[28:29], v[30:31]
	v_fma_f64 v[16:17], v[16:17], v[32:33], v[34:35]
	;; [unrolled: 1-line block ×6, first 2 shown]
	v_fma_f64 v[14:15], v[14:15], v[48:49], -v[50:51]
	v_fma_f64 v[10:11], v[10:11], v[44:45], -v[46:47]
	v_add_f64 v[28:29], v[26:27], v[18:19]
	v_add_f64 v[30:31], v[22:23], v[2:3]
	;; [unrolled: 1-line block ×3, first 2 shown]
	v_add_f64 v[16:17], v[24:25], -v[16:17]
	v_add_f64 v[34:35], v[20:21], v[0:1]
	v_add_f64 v[36:37], v[8:9], -v[12:13]
	v_add_f64 v[8:9], v[12:13], v[8:9]
	v_add_f64 v[24:25], v[14:15], v[10:11]
	v_add_f64 v[12:13], v[20:21], -v[0:1]
	v_add_f64 v[10:11], v[10:11], -v[14:15]
	;; [unrolled: 1-line block ×4, first 2 shown]
	v_add_f64 v[0:1], v[28:29], v[30:31]
	v_add_f64 v[2:3], v[32:33], v[34:35]
	v_add_f64 v[20:21], v[36:37], -v[16:17]
	v_add_f64 v[26:27], v[34:35], -v[8:9]
	;; [unrolled: 1-line block ×4, first 2 shown]
	v_add_f64 v[16:17], v[36:37], v[16:17]
	v_add_f64 v[36:37], v[12:13], -v[36:37]
	v_add_f64 v[42:43], v[14:15], -v[18:19]
	v_add_f64 v[40:41], v[24:25], v[0:1]
	v_add_f64 v[24:25], v[24:25], -v[28:29]
	v_add_f64 v[0:1], v[10:11], -v[14:15]
	v_add_f64 v[14:15], v[10:11], v[14:15]
	v_add_f64 v[44:45], v[8:9], v[2:3]
	v_add_f64 v[8:9], v[8:9], -v[32:33]
	v_mul_f64 v[20:21], v[20:21], s[12:13]
	v_mul_f64 v[26:27], v[26:27], s[10:11]
	;; [unrolled: 1-line block ×4, first 2 shown]
	v_add_f64 v[10:11], v[18:19], -v[10:11]
	v_add_f64 v[12:13], v[16:17], v[12:13]
	v_mul_f64 v[48:49], v[42:43], s[4:5]
	v_add_f64 v[2:3], v[6:7], v[40:41]
	v_add_f64 v[6:7], v[28:29], -v[30:31]
	v_mul_f64 v[28:29], v[24:25], s[18:19]
	v_mul_f64 v[30:31], v[0:1], s[12:13]
	v_add_f64 v[0:1], v[4:5], v[44:45]
	v_add_f64 v[4:5], v[32:33], -v[34:35]
	v_mul_f64 v[32:33], v[8:9], s[18:19]
	v_add_f64 v[14:15], v[14:15], v[18:19]
	v_fma_f64 v[16:17], v[36:37], s[22:23], v[20:21]
	v_fma_f64 v[18:19], v[24:25], s[18:19], v[22:23]
	;; [unrolled: 1-line block ×3, first 2 shown]
	v_fma_f64 v[24:25], v[36:37], s[24:25], -v[46:47]
	v_fma_f64 v[20:21], v[38:39], s[4:5], -v[20:21]
	v_fma_f64 v[34:35], v[40:41], s[14:15], v[2:3]
	v_fma_f64 v[22:23], v[6:7], s[20:21], -v[22:23]
	v_fma_f64 v[6:7], v[6:7], s[16:17], -v[28:29]
	v_fma_f64 v[28:29], v[10:11], s[22:23], v[30:31]
	v_fma_f64 v[36:37], v[44:45], s[14:15], v[0:1]
	v_fma_f64 v[10:11], v[10:11], s[24:25], -v[48:49]
	v_fma_f64 v[26:27], v[4:5], s[20:21], -v[26:27]
	;; [unrolled: 1-line block ×4, first 2 shown]
	v_fma_f64 v[16:17], v[12:13], s[26:27], v[16:17]
	v_fma_f64 v[24:25], v[12:13], s[26:27], v[24:25]
	;; [unrolled: 1-line block ×3, first 2 shown]
	v_add_f64 v[20:21], v[18:19], v[34:35]
	v_add_f64 v[22:23], v[22:23], v[34:35]
	;; [unrolled: 1-line block ×3, first 2 shown]
	v_fma_f64 v[28:29], v[14:15], s[26:27], v[28:29]
	v_add_f64 v[34:35], v[8:9], v[36:37]
	v_fma_f64 v[32:33], v[14:15], s[26:27], v[10:11]
	v_add_f64 v[8:9], v[26:27], v[36:37]
	;; [unrolled: 2-line block ×3, first 2 shown]
	v_add_f64 v[26:27], v[20:21], -v[16:17]
	v_add_f64 v[10:11], v[24:25], v[22:23]
	v_add_f64 v[22:23], v[22:23], -v[24:25]
	v_add_f64 v[6:7], v[16:17], v[20:21]
	v_add_f64 v[24:25], v[28:29], v[34:35]
	v_add_f64 v[14:15], v[18:19], -v[12:13]
	v_add_f64 v[20:21], v[32:33], v[8:9]
	;; [unrolled: 3-line block ×3, first 2 shown]
	v_add_f64 v[8:9], v[8:9], -v[32:33]
	v_add_f64 v[4:5], v[34:35], -v[28:29]
	v_mul_lo_u16 v28, 0xb6, v64
	v_lshlrev_b32_e32 v29, 4, v65
	s_delay_alu instid0(VALU_DEP_2) | instskip(NEXT) | instid1(VALU_DEP_1)
	v_and_b32_e32 v28, 0xffff, v28
	v_lshlrev_b32_e32 v28, 4, v28
	s_delay_alu instid0(VALU_DEP_1)
	v_add3_u32 v28, 0, v29, v28
	ds_store_b128 v28, v[0:3]
	ds_store_b128 v28, v[24:27] offset:416
	ds_store_b128 v28, v[20:23] offset:832
	;; [unrolled: 1-line block ×6, first 2 shown]
.LBB0_31:
	s_or_b32 exec_lo, exec_lo, s1
	v_mul_u32_u24_e32 v0, 10, v78
	s_waitcnt lgkmcnt(0)
	s_barrier
	buffer_gl0_inv
	s_mov_b32 s0, 0xf8bb580b
	v_lshlrev_b32_e32 v4, 4, v0
	s_mov_b32 s4, 0x8764f0ba
	s_mov_b32 s10, 0x8eee2c13
	;; [unrolled: 1-line block ×4, first 2 shown]
	s_clause 0x9
	global_load_b128 v[0:3], v4, s[8:9] offset:2880
	global_load_b128 v[8:11], v4, s[8:9] offset:3024
	;; [unrolled: 1-line block ×10, first 2 shown]
	ds_load_b128 v[4:7], v250 offset:2912
	ds_load_b128 v[44:47], v250 offset:29120
	;; [unrolled: 1-line block ×9, first 2 shown]
	s_mov_b32 s5, 0x3feaeb8c
	s_mov_b32 s11, 0xbfed1bb4
	;; [unrolled: 1-line block ×25, first 2 shown]
	s_waitcnt vmcnt(9) lgkmcnt(8)
	v_mul_f64 v[82:83], v[6:7], v[2:3]
	v_mul_f64 v[2:3], v[4:5], v[2:3]
	s_waitcnt vmcnt(8) lgkmcnt(7)
	v_mul_f64 v[86:87], v[44:45], v[10:11]
	s_waitcnt vmcnt(7) lgkmcnt(6)
	;; [unrolled: 2-line block ×3, first 2 shown]
	v_mul_f64 v[90:91], v[52:53], v[18:19]
	v_mul_f64 v[14:15], v[50:51], v[14:15]
	s_waitcnt vmcnt(5) lgkmcnt(4)
	v_mul_f64 v[96:97], v[56:57], v[22:23]
	s_waitcnt vmcnt(4) lgkmcnt(3)
	v_mul_f64 v[98:99], v[60:61], v[26:27]
	v_mul_f64 v[10:11], v[46:47], v[10:11]
	;; [unrolled: 1-line block ×5, first 2 shown]
	s_waitcnt vmcnt(2) lgkmcnt(0)
	v_mul_f64 v[102:103], v[74:75], v[34:35]
	v_mul_f64 v[34:35], v[72:73], v[34:35]
	;; [unrolled: 1-line block ×4, first 2 shown]
	s_waitcnt vmcnt(1)
	v_mul_f64 v[104:105], v[70:71], v[38:39]
	v_mul_f64 v[38:39], v[68:69], v[38:39]
	v_fma_f64 v[92:93], v[4:5], v[0:1], v[82:83]
	v_fma_f64 v[94:95], v[6:7], v[0:1], -v[2:3]
	ds_load_b128 v[82:85], v250 offset:17472
	ds_load_b128 v[0:3], v250
	v_fma_f64 v[4:5], v[46:47], v[8:9], -v[86:87]
	v_fma_f64 v[46:47], v[50:51], v[12:13], -v[88:89]
	;; [unrolled: 1-line block ×3, first 2 shown]
	v_fma_f64 v[48:49], v[48:49], v[12:13], v[14:15]
	v_fma_f64 v[58:59], v[58:59], v[20:21], -v[96:97]
	v_fma_f64 v[12:13], v[62:63], v[24:25], -v[98:99]
	v_fma_f64 v[8:9], v[44:45], v[8:9], v[10:11]
	v_fma_f64 v[20:21], v[56:57], v[20:21], v[22:23]
	;; [unrolled: 1-line block ×4, first 2 shown]
	v_fma_f64 v[24:25], v[74:75], v[32:33], -v[34:35]
	v_fma_f64 v[10:11], v[52:53], v[16:17], v[18:19]
	v_fma_f64 v[16:17], v[64:65], v[28:29], v[100:101]
	v_fma_f64 v[18:19], v[66:67], v[28:29], -v[30:31]
	v_fma_f64 v[26:27], v[68:69], v[36:37], v[104:105]
	v_fma_f64 v[28:29], v[70:71], v[36:37], -v[38:39]
	s_waitcnt vmcnt(0) lgkmcnt(0)
	s_barrier
	v_mul_f64 v[106:107], v[84:85], v[42:43]
	v_mul_f64 v[42:43], v[82:83], v[42:43]
	buffer_gl0_inv
	v_add_f64 v[50:51], v[0:1], v[92:93]
	v_add_f64 v[54:55], v[2:3], v[94:95]
	v_add_f64 v[34:35], v[94:95], -v[4:5]
	v_add_f64 v[36:37], v[94:95], v[4:5]
	v_add_f64 v[38:39], v[46:47], -v[6:7]
	v_add_f64 v[52:53], v[92:93], v[8:9]
	v_add_f64 v[60:61], v[20:21], v[14:15]
	v_add_f64 v[62:63], v[20:21], -v[14:15]
	v_add_f64 v[56:57], v[48:49], v[10:11]
	v_add_f64 v[64:65], v[16:17], v[22:23]
	;; [unrolled: 1-line block ×3, first 2 shown]
	v_add_f64 v[68:69], v[18:19], -v[24:25]
	v_add_f64 v[70:71], v[16:17], -v[22:23]
	v_fma_f64 v[30:31], v[82:83], v[40:41], v[106:107]
	v_fma_f64 v[32:33], v[84:85], v[40:41], -v[42:43]
	v_add_f64 v[40:41], v[46:47], v[6:7]
	v_add_f64 v[42:43], v[50:51], v[48:49]
	;; [unrolled: 1-line block ×3, first 2 shown]
	v_add_f64 v[54:55], v[92:93], -v[8:9]
	v_add_f64 v[46:47], v[58:59], -v[12:13]
	v_mul_f64 v[86:87], v[34:35], s[0:1]
	v_mul_f64 v[88:89], v[36:37], s[4:5]
	;; [unrolled: 1-line block ×10, first 2 shown]
	v_add_f64 v[50:51], v[58:59], v[12:13]
	v_add_f64 v[48:49], v[48:49], -v[10:11]
	v_mul_f64 v[102:103], v[38:39], s[10:11]
	v_mul_f64 v[106:107], v[38:39], s[22:23]
	;; [unrolled: 1-line block ×6, first 2 shown]
	v_add_f64 v[72:73], v[26:27], v[30:31]
	v_add_f64 v[74:75], v[28:29], v[32:33]
	v_mul_f64 v[104:105], v[40:41], s[12:13]
	v_mul_f64 v[108:109], v[40:41], s[30:31]
	;; [unrolled: 1-line block ×3, first 2 shown]
	v_add_f64 v[82:83], v[26:27], -v[30:31]
	v_add_f64 v[84:85], v[28:29], -v[32:33]
	v_mul_f64 v[138:139], v[68:69], s[0:1]
	v_mul_f64 v[140:141], v[66:67], s[4:5]
	;; [unrolled: 1-line block ×7, first 2 shown]
	v_add_f64 v[20:21], v[42:43], v[20:21]
	v_add_f64 v[42:43], v[44:45], v[58:59]
	v_mul_f64 v[44:45], v[40:41], s[24:25]
	v_mul_f64 v[58:59], v[38:39], s[34:35]
	;; [unrolled: 1-line block ×4, first 2 shown]
	v_fma_f64 v[162:163], v[52:53], s[12:13], v[90:91]
	v_fma_f64 v[164:165], v[54:55], s[14:15], v[92:93]
	v_fma_f64 v[90:91], v[52:53], s[12:13], -v[90:91]
	v_fma_f64 v[166:167], v[52:53], s[18:19], v[94:95]
	v_fma_f64 v[168:169], v[54:55], s[20:21], v[96:97]
	v_fma_f64 v[94:95], v[52:53], s[18:19], -v[94:95]
	;; [unrolled: 3-line block ×4, first 2 shown]
	v_fma_f64 v[36:37], v[54:55], s[28:29], v[36:37]
	v_fma_f64 v[100:101], v[54:55], s[22:23], v[100:101]
	;; [unrolled: 1-line block ×4, first 2 shown]
	v_mul_f64 v[114:115], v[46:47], s[16:17]
	v_mul_f64 v[148:149], v[74:75], s[30:31]
	;; [unrolled: 1-line block ×8, first 2 shown]
	v_fma_f64 v[178:179], v[56:57], s[24:25], v[106:107]
	v_mul_f64 v[122:123], v[46:47], s[14:15]
	v_mul_f64 v[124:125], v[50:51], s[12:13]
	v_fma_f64 v[106:107], v[56:57], s[24:25], -v[106:107]
	v_fma_f64 v[184:185], v[48:49], s[28:29], v[108:109]
	v_mul_f64 v[126:127], v[46:47], s[0:1]
	v_mul_f64 v[128:129], v[50:51], s[4:5]
	v_fma_f64 v[186:187], v[56:57], s[18:19], v[110:111]
	v_add_f64 v[16:17], v[20:21], v[16:17]
	v_add_f64 v[18:19], v[42:43], v[18:19]
	v_mul_f64 v[20:21], v[74:75], s[18:19]
	v_fma_f64 v[42:43], v[52:53], s[4:5], v[86:87]
	v_fma_f64 v[74:75], v[54:55], s[8:9], v[88:89]
	v_fma_f64 v[86:87], v[52:53], s[4:5], -v[86:87]
	v_fma_f64 v[88:89], v[54:55], s[0:1], v[88:89]
	v_fma_f64 v[52:53], v[56:57], s[12:13], v[102:103]
	;; [unrolled: 1-line block ×3, first 2 shown]
	v_fma_f64 v[102:103], v[56:57], s[12:13], -v[102:103]
	v_fma_f64 v[104:105], v[48:49], s[10:11], v[104:105]
	v_fma_f64 v[180:181], v[48:49], s[26:27], v[44:45]
	v_add_f64 v[162:163], v[0:1], v[162:163]
	v_add_f64 v[164:165], v[2:3], v[164:165]
	v_fma_f64 v[182:183], v[56:57], s[30:31], v[58:59]
	v_add_f64 v[90:91], v[0:1], v[90:91]
	v_add_f64 v[166:167], v[0:1], v[166:167]
	;; [unrolled: 1-line block ×3, first 2 shown]
	v_fma_f64 v[58:59], v[56:57], s[30:31], -v[58:59]
	v_fma_f64 v[188:189], v[48:49], s[16:17], v[112:113]
	v_add_f64 v[94:95], v[0:1], v[94:95]
	v_add_f64 v[170:171], v[0:1], v[170:171]
	v_add_f64 v[172:173], v[2:3], v[172:173]
	v_mul_f64 v[46:47], v[46:47], s[22:23]
	v_mul_f64 v[50:51], v[50:51], s[24:25]
	v_fma_f64 v[110:111], v[56:57], s[18:19], -v[110:111]
	v_add_f64 v[98:99], v[0:1], v[98:99]
	v_add_f64 v[174:175], v[0:1], v[174:175]
	;; [unrolled: 1-line block ×3, first 2 shown]
	v_fma_f64 v[108:109], v[48:49], s[34:35], v[108:109]
	v_add_f64 v[96:97], v[2:3], v[96:97]
	v_fma_f64 v[44:45], v[48:49], s[22:23], v[44:45]
	v_add_f64 v[92:93], v[2:3], v[92:93]
	v_fma_f64 v[190:191], v[60:61], s[30:31], v[118:119]
	v_fma_f64 v[192:193], v[62:63], s[28:29], v[120:121]
	;; [unrolled: 1-line block ×4, first 2 shown]
	v_fma_f64 v[122:123], v[60:61], s[12:13], -v[122:123]
	v_add_f64 v[16:17], v[16:17], v[26:27]
	v_add_f64 v[18:19], v[18:19], v[28:29]
	v_fma_f64 v[26:27], v[48:49], s[20:21], v[112:113]
	v_add_f64 v[42:43], v[0:1], v[42:43]
	v_fma_f64 v[28:29], v[56:57], s[4:5], v[38:39]
	v_add_f64 v[86:87], v[0:1], v[86:87]
	v_add_f64 v[88:89], v[2:3], v[88:89]
	v_fma_f64 v[112:113], v[48:49], s[0:1], v[40:41]
	v_fma_f64 v[38:39], v[56:57], s[4:5], -v[38:39]
	v_fma_f64 v[40:41], v[48:49], s[8:9], v[40:41]
	v_add_f64 v[0:1], v[0:1], v[34:35]
	v_add_f64 v[34:35], v[2:3], v[36:37]
	;; [unrolled: 1-line block ×4, first 2 shown]
	v_fma_f64 v[48:49], v[60:61], s[18:19], v[114:115]
	v_fma_f64 v[56:57], v[62:63], s[20:21], v[116:117]
	v_fma_f64 v[114:115], v[60:61], s[18:19], -v[114:115]
	v_fma_f64 v[116:117], v[62:63], s[16:17], v[116:117]
	v_add_f64 v[90:91], v[106:107], v[90:91]
	v_add_f64 v[106:107], v[184:185], v[168:169]
	;; [unrolled: 1-line block ×4, first 2 shown]
	v_fma_f64 v[74:75], v[60:61], s[4:5], -v[126:127]
	v_fma_f64 v[100:101], v[62:63], s[0:1], v[128:129]
	v_fma_f64 v[124:125], v[62:63], s[14:15], v[124:125]
	v_fma_f64 v[118:119], v[60:61], s[30:31], -v[118:119]
	v_add_f64 v[98:99], v[110:111], v[98:99]
	v_fma_f64 v[120:121], v[62:63], s[34:35], v[120:121]
	v_mul_f64 v[150:151], v[84:85], s[8:9]
	v_fma_f64 v[198:199], v[64:65], s[18:19], v[134:135]
	v_fma_f64 v[200:201], v[70:71], s[16:17], v[136:137]
	v_mul_f64 v[154:155], v[84:85], s[22:23]
	v_mul_f64 v[158:159], v[84:85], s[14:15]
	;; [unrolled: 1-line block ×4, first 2 shown]
	v_fma_f64 v[134:135], v[64:65], s[18:19], -v[134:135]
	v_fma_f64 v[136:137], v[70:71], s[20:21], v[136:137]
	v_add_f64 v[16:17], v[16:17], v[30:31]
	v_add_f64 v[18:19], v[18:19], v[32:33]
	v_fma_f64 v[30:31], v[60:61], s[4:5], v[126:127]
	v_add_f64 v[42:43], v[52:53], v[42:43]
	v_fma_f64 v[32:33], v[62:63], s[8:9], v[128:129]
	v_add_f64 v[52:53], v[102:103], v[86:87]
	v_add_f64 v[86:87], v[104:105], v[88:89]
	;; [unrolled: 1-line block ×6, first 2 shown]
	v_fma_f64 v[126:127], v[60:61], s[24:25], v[46:47]
	v_fma_f64 v[128:129], v[62:63], s[26:27], v[50:51]
	v_add_f64 v[28:29], v[28:29], v[174:175]
	v_add_f64 v[110:111], v[112:113], v[176:177]
	v_fma_f64 v[46:47], v[60:61], s[24:25], -v[46:47]
	v_fma_f64 v[50:51], v[62:63], s[22:23], v[50:51]
	v_add_f64 v[0:1], v[38:39], v[0:1]
	v_add_f64 v[34:35], v[40:41], v[34:35]
	;; [unrolled: 1-line block ×6, first 2 shown]
	v_fma_f64 v[60:61], v[64:65], s[24:25], v[130:131]
	v_fma_f64 v[54:55], v[64:65], s[30:31], v[142:143]
	;; [unrolled: 1-line block ×3, first 2 shown]
	v_fma_f64 v[40:41], v[64:65], s[4:5], -v[138:139]
	v_fma_f64 v[112:113], v[64:65], s[12:13], v[68:69]
	v_add_f64 v[58:59], v[122:123], v[58:59]
	v_fma_f64 v[130:131], v[64:65], s[24:25], -v[130:131]
	v_fma_f64 v[96:97], v[64:65], s[30:31], -v[142:143]
	v_fma_f64 v[108:109], v[70:71], s[28:29], v[144:145]
	v_add_f64 v[74:75], v[74:75], v[98:99]
	v_fma_f64 v[44:45], v[70:71], s[0:1], v[140:141]
	v_add_f64 v[90:91], v[118:119], v[90:91]
	v_fma_f64 v[62:63], v[70:71], s[26:27], v[132:133]
	v_fma_f64 v[132:133], v[70:71], s[22:23], v[132:133]
	;; [unrolled: 1-line block ×3, first 2 shown]
	v_add_f64 v[16:17], v[16:17], v[22:23]
	v_add_f64 v[18:19], v[18:19], v[24:25]
	v_fma_f64 v[22:23], v[64:65], s[4:5], v[138:139]
	v_add_f64 v[42:43], v[48:49], v[42:43]
	v_fma_f64 v[24:25], v[70:71], s[8:9], v[140:141]
	v_add_f64 v[48:49], v[114:115], v[52:53]
	v_add_f64 v[52:53], v[116:117], v[86:87]
	;; [unrolled: 1-line block ×8, first 2 shown]
	v_fma_f64 v[138:139], v[70:71], s[10:11], v[66:67]
	v_add_f64 v[28:29], v[126:127], v[28:29]
	v_add_f64 v[94:95], v[128:129], v[110:111]
	v_fma_f64 v[64:65], v[64:65], s[12:13], -v[68:69]
	v_fma_f64 v[66:67], v[70:71], s[14:15], v[66:67]
	v_add_f64 v[0:1], v[46:47], v[0:1]
	v_add_f64 v[34:35], v[50:51], v[34:35]
	;; [unrolled: 1-line block ×6, first 2 shown]
	v_fma_f64 v[70:71], v[82:83], s[34:35], v[148:149]
	v_fma_f64 v[50:51], v[82:83], s[8:9], v[152:153]
	v_fma_f64 v[98:99], v[82:83], s[26:27], v[156:157]
	v_fma_f64 v[106:107], v[82:83], s[22:23], v[156:157]
	v_fma_f64 v[114:115], v[82:83], s[10:11], v[160:161]
	v_fma_f64 v[118:119], v[82:83], s[14:15], v[160:161]
	v_fma_f64 v[122:123], v[82:83], s[20:21], v[20:21]
	v_fma_f64 v[20:21], v[82:83], s[16:17], v[20:21]
	v_fma_f64 v[56:57], v[72:73], s[24:25], v[154:155]
	v_fma_f64 v[110:111], v[72:73], s[12:13], v[158:159]
	v_fma_f64 v[100:101], v[72:73], s[24:25], -v[154:155]
	v_fma_f64 v[120:121], v[72:73], s[18:19], v[84:85]
	v_add_f64 v[40:41], v[40:41], v[58:59]
	v_fma_f64 v[68:69], v[72:73], s[30:31], v[146:147]
	v_add_f64 v[14:15], v[16:17], v[14:15]
	v_add_f64 v[12:13], v[18:19], v[12:13]
	v_fma_f64 v[16:17], v[72:73], s[4:5], v[150:151]
	v_fma_f64 v[18:19], v[82:83], s[0:1], v[152:153]
	v_add_f64 v[42:43], v[60:61], v[42:43]
	v_fma_f64 v[140:141], v[72:73], s[30:31], -v[146:147]
	v_fma_f64 v[46:47], v[72:73], s[4:5], -v[150:151]
	v_add_f64 v[60:61], v[198:199], v[86:87]
	v_add_f64 v[82:83], v[200:201], v[88:89]
	;; [unrolled: 1-line block ×6, first 2 shown]
	v_fma_f64 v[116:117], v[72:73], s[12:13], -v[158:159]
	v_add_f64 v[28:29], v[112:113], v[28:29]
	v_add_f64 v[58:59], v[138:139], v[94:95]
	v_fma_f64 v[72:73], v[72:73], s[18:19], -v[84:85]
	v_add_f64 v[54:55], v[96:97], v[74:75]
	v_add_f64 v[64:65], v[64:65], v[0:1]
	;; [unrolled: 1-line block ×34, first 2 shown]
	ds_store_b128 v250, v[14:17] offset:5824
	ds_store_b128 v250, v[22:25] offset:8736
	;; [unrolled: 1-line block ×9, first 2 shown]
	ds_store_b128 v250, v[6:9]
	ds_store_b128 v250, v[0:3] offset:2912
	s_waitcnt lgkmcnt(0)
	s_barrier
	buffer_gl0_inv
	s_and_saveexec_b32 s0, vcc_lo
	s_cbranch_execz .LBB0_33
; %bb.32:
	v_mul_lo_u32 v2, s3, v80
	v_mul_lo_u32 v3, s2, v81
	v_mad_u64_u32 v[0:1], null, s2, v80, 0
	v_lshl_add_u32 v28, v78, 4, 0
	v_dual_mov_b32 v79, 0 :: v_dual_add_nc_u32 v12, 0xb6, v78
	v_lshlrev_b64 v[8:9], 4, v[76:77]
	v_add_nc_u32_e32 v22, 0x38e, v78
	s_delay_alu instid0(VALU_DEP_3) | instskip(SKIP_4) | instid1(VALU_DEP_4)
	v_dual_mov_b32 v25, v79 :: v_dual_add_nc_u32 v24, 0x444, v78
	v_add3_u32 v1, v1, v3, v2
	v_mov_b32_e32 v13, v79
	v_lshlrev_b64 v[14:15], 4, v[78:79]
	v_mov_b32_e32 v23, v79
	v_lshlrev_b64 v[10:11], 4, v[0:1]
	ds_load_b128 v[0:3], v28
	ds_load_b128 v[4:7], v28 offset:2912
	v_lshlrev_b64 v[22:23], 4, v[22:23]
	v_add_co_u32 v10, vcc_lo, s6, v10
	v_add_co_ci_u32_e32 v11, vcc_lo, s7, v11, vcc_lo
	s_delay_alu instid0(VALU_DEP_2) | instskip(NEXT) | instid1(VALU_DEP_2)
	v_add_co_u32 v30, vcc_lo, v10, v8
	v_add_co_ci_u32_e32 v31, vcc_lo, v11, v9, vcc_lo
	v_lshlrev_b64 v[8:9], 4, v[12:13]
	v_add_nc_u32_e32 v12, 0x16c, v78
	s_delay_alu instid0(VALU_DEP_4) | instskip(NEXT) | instid1(VALU_DEP_4)
	v_add_co_u32 v10, vcc_lo, v30, v14
	v_add_co_ci_u32_e32 v11, vcc_lo, v31, v15, vcc_lo
	s_delay_alu instid0(VALU_DEP_4)
	v_add_co_u32 v8, vcc_lo, v30, v8
	v_add_co_ci_u32_e32 v9, vcc_lo, v31, v9, vcc_lo
	s_waitcnt lgkmcnt(1)
	global_store_b128 v[10:11], v[0:3], off
	s_waitcnt lgkmcnt(0)
	global_store_b128 v[8:9], v[4:7], off
	v_lshlrev_b64 v[0:1], 4, v[12:13]
	v_dual_mov_b32 v9, v79 :: v_dual_add_nc_u32 v8, 0x222, v78
	v_dual_mov_b32 v11, v79 :: v_dual_add_nc_u32 v10, 0x2d8, v78
	s_delay_alu instid0(VALU_DEP_3) | instskip(NEXT) | instid1(VALU_DEP_4)
	v_add_co_u32 v16, vcc_lo, v30, v0
	v_add_co_ci_u32_e32 v17, vcc_lo, v31, v1, vcc_lo
	ds_load_b128 v[0:3], v28 offset:5824
	ds_load_b128 v[4:7], v28 offset:8736
	v_lshlrev_b64 v[18:19], 4, v[8:9]
	v_lshlrev_b64 v[20:21], 4, v[10:11]
	ds_load_b128 v[8:11], v28 offset:11648
	ds_load_b128 v[12:15], v28 offset:14560
	v_add_co_u32 v18, vcc_lo, v30, v18
	v_add_co_ci_u32_e32 v19, vcc_lo, v31, v19, vcc_lo
	v_add_co_u32 v20, vcc_lo, v30, v20
	v_add_co_ci_u32_e32 v21, vcc_lo, v31, v21, vcc_lo
	v_add_co_u32 v22, vcc_lo, v30, v22
	s_waitcnt lgkmcnt(3)
	global_store_b128 v[16:17], v[0:3], off
	s_waitcnt lgkmcnt(2)
	global_store_b128 v[18:19], v[4:7], off
	v_dual_mov_b32 v3, v79 :: v_dual_add_nc_u32 v2, 0x4fa, v78
	v_add_co_ci_u32_e32 v23, vcc_lo, v31, v23, vcc_lo
	v_lshlrev_b64 v[0:1], 4, v[24:25]
	s_waitcnt lgkmcnt(1)
	global_store_b128 v[20:21], v[8:11], off
	s_waitcnt lgkmcnt(0)
	global_store_b128 v[22:23], v[12:15], off
	v_lshlrev_b64 v[8:9], 4, v[2:3]
	v_dual_mov_b32 v11, v79 :: v_dual_add_nc_u32 v10, 0x5b0, v78
	v_add_co_u32 v20, vcc_lo, v30, v0
	v_add_co_ci_u32_e32 v21, vcc_lo, v31, v1, vcc_lo
	s_delay_alu instid0(VALU_DEP_4)
	v_add_co_u32 v22, vcc_lo, v30, v8
	ds_load_b128 v[0:3], v28 offset:17472
	ds_load_b128 v[4:7], v28 offset:20384
	v_add_co_ci_u32_e32 v23, vcc_lo, v31, v9, vcc_lo
	v_lshlrev_b64 v[26:27], 4, v[10:11]
	ds_load_b128 v[8:11], v28 offset:23296
	ds_load_b128 v[12:15], v28 offset:26208
	;; [unrolled: 1-line block ×3, first 2 shown]
	v_add_nc_u32_e32 v24, 0x666, v78
	v_add_nc_u32_e32 v78, 0x71c, v78
	v_add_co_u32 v26, vcc_lo, v30, v26
	s_delay_alu instid0(VALU_DEP_3) | instskip(NEXT) | instid1(VALU_DEP_3)
	v_lshlrev_b64 v[24:25], 4, v[24:25]
	v_lshlrev_b64 v[28:29], 4, v[78:79]
	v_add_co_ci_u32_e32 v27, vcc_lo, v31, v27, vcc_lo
	s_delay_alu instid0(VALU_DEP_3) | instskip(NEXT) | instid1(VALU_DEP_4)
	v_add_co_u32 v24, vcc_lo, v30, v24
	v_add_co_ci_u32_e32 v25, vcc_lo, v31, v25, vcc_lo
	s_delay_alu instid0(VALU_DEP_4)
	v_add_co_u32 v28, vcc_lo, v30, v28
	v_add_co_ci_u32_e32 v29, vcc_lo, v31, v29, vcc_lo
	s_waitcnt lgkmcnt(4)
	global_store_b128 v[20:21], v[0:3], off
	s_waitcnt lgkmcnt(3)
	global_store_b128 v[22:23], v[4:7], off
	s_waitcnt lgkmcnt(2)
	global_store_b128 v[26:27], v[8:11], off
	s_waitcnt lgkmcnt(1)
	global_store_b128 v[24:25], v[12:15], off
	s_waitcnt lgkmcnt(0)
	global_store_b128 v[28:29], v[16:19], off
.LBB0_33:
	s_nop 0
	s_sendmsg sendmsg(MSG_DEALLOC_VGPRS)
	s_endpgm
	.section	.rodata,"a",@progbits
	.p2align	6, 0x0
	.amdhsa_kernel fft_rtc_back_len2002_factors_2_13_7_11_wgs_182_tpt_182_halfLds_dp_op_CI_CI_unitstride_sbrr_C2R_dirReg
		.amdhsa_group_segment_fixed_size 0
		.amdhsa_private_segment_fixed_size 36
		.amdhsa_kernarg_size 104
		.amdhsa_user_sgpr_count 15
		.amdhsa_user_sgpr_dispatch_ptr 0
		.amdhsa_user_sgpr_queue_ptr 0
		.amdhsa_user_sgpr_kernarg_segment_ptr 1
		.amdhsa_user_sgpr_dispatch_id 0
		.amdhsa_user_sgpr_private_segment_size 0
		.amdhsa_wavefront_size32 1
		.amdhsa_uses_dynamic_stack 0
		.amdhsa_enable_private_segment 1
		.amdhsa_system_sgpr_workgroup_id_x 1
		.amdhsa_system_sgpr_workgroup_id_y 0
		.amdhsa_system_sgpr_workgroup_id_z 0
		.amdhsa_system_sgpr_workgroup_info 0
		.amdhsa_system_vgpr_workitem_id 0
		.amdhsa_next_free_vgpr 256
		.amdhsa_next_free_sgpr 46
		.amdhsa_reserve_vcc 1
		.amdhsa_float_round_mode_32 0
		.amdhsa_float_round_mode_16_64 0
		.amdhsa_float_denorm_mode_32 3
		.amdhsa_float_denorm_mode_16_64 3
		.amdhsa_dx10_clamp 1
		.amdhsa_ieee_mode 1
		.amdhsa_fp16_overflow 0
		.amdhsa_workgroup_processor_mode 1
		.amdhsa_memory_ordered 1
		.amdhsa_forward_progress 0
		.amdhsa_shared_vgpr_count 0
		.amdhsa_exception_fp_ieee_invalid_op 0
		.amdhsa_exception_fp_denorm_src 0
		.amdhsa_exception_fp_ieee_div_zero 0
		.amdhsa_exception_fp_ieee_overflow 0
		.amdhsa_exception_fp_ieee_underflow 0
		.amdhsa_exception_fp_ieee_inexact 0
		.amdhsa_exception_int_div_zero 0
	.end_amdhsa_kernel
	.text
.Lfunc_end0:
	.size	fft_rtc_back_len2002_factors_2_13_7_11_wgs_182_tpt_182_halfLds_dp_op_CI_CI_unitstride_sbrr_C2R_dirReg, .Lfunc_end0-fft_rtc_back_len2002_factors_2_13_7_11_wgs_182_tpt_182_halfLds_dp_op_CI_CI_unitstride_sbrr_C2R_dirReg
                                        ; -- End function
	.section	.AMDGPU.csdata,"",@progbits
; Kernel info:
; codeLenInByte = 15288
; NumSgprs: 48
; NumVgprs: 256
; ScratchSize: 36
; MemoryBound: 0
; FloatMode: 240
; IeeeMode: 1
; LDSByteSize: 0 bytes/workgroup (compile time only)
; SGPRBlocks: 5
; VGPRBlocks: 31
; NumSGPRsForWavesPerEU: 48
; NumVGPRsForWavesPerEU: 256
; Occupancy: 5
; WaveLimiterHint : 1
; COMPUTE_PGM_RSRC2:SCRATCH_EN: 1
; COMPUTE_PGM_RSRC2:USER_SGPR: 15
; COMPUTE_PGM_RSRC2:TRAP_HANDLER: 0
; COMPUTE_PGM_RSRC2:TGID_X_EN: 1
; COMPUTE_PGM_RSRC2:TGID_Y_EN: 0
; COMPUTE_PGM_RSRC2:TGID_Z_EN: 0
; COMPUTE_PGM_RSRC2:TIDIG_COMP_CNT: 0
	.text
	.p2alignl 7, 3214868480
	.fill 96, 4, 3214868480
	.type	__hip_cuid_f81d8626e212e779,@object ; @__hip_cuid_f81d8626e212e779
	.section	.bss,"aw",@nobits
	.globl	__hip_cuid_f81d8626e212e779
__hip_cuid_f81d8626e212e779:
	.byte	0                               ; 0x0
	.size	__hip_cuid_f81d8626e212e779, 1

	.ident	"AMD clang version 19.0.0git (https://github.com/RadeonOpenCompute/llvm-project roc-6.4.0 25133 c7fe45cf4b819c5991fe208aaa96edf142730f1d)"
	.section	".note.GNU-stack","",@progbits
	.addrsig
	.addrsig_sym __hip_cuid_f81d8626e212e779
	.amdgpu_metadata
---
amdhsa.kernels:
  - .args:
      - .actual_access:  read_only
        .address_space:  global
        .offset:         0
        .size:           8
        .value_kind:     global_buffer
      - .offset:         8
        .size:           8
        .value_kind:     by_value
      - .actual_access:  read_only
        .address_space:  global
        .offset:         16
        .size:           8
        .value_kind:     global_buffer
      - .actual_access:  read_only
        .address_space:  global
        .offset:         24
        .size:           8
        .value_kind:     global_buffer
      - .actual_access:  read_only
        .address_space:  global
        .offset:         32
        .size:           8
        .value_kind:     global_buffer
      - .offset:         40
        .size:           8
        .value_kind:     by_value
      - .actual_access:  read_only
        .address_space:  global
        .offset:         48
        .size:           8
        .value_kind:     global_buffer
      - .actual_access:  read_only
        .address_space:  global
        .offset:         56
        .size:           8
        .value_kind:     global_buffer
      - .offset:         64
        .size:           4
        .value_kind:     by_value
      - .actual_access:  read_only
        .address_space:  global
        .offset:         72
        .size:           8
        .value_kind:     global_buffer
      - .actual_access:  read_only
        .address_space:  global
        .offset:         80
        .size:           8
        .value_kind:     global_buffer
      - .actual_access:  read_only
        .address_space:  global
        .offset:         88
        .size:           8
        .value_kind:     global_buffer
      - .actual_access:  write_only
        .address_space:  global
        .offset:         96
        .size:           8
        .value_kind:     global_buffer
    .group_segment_fixed_size: 0
    .kernarg_segment_align: 8
    .kernarg_segment_size: 104
    .language:       OpenCL C
    .language_version:
      - 2
      - 0
    .max_flat_workgroup_size: 182
    .name:           fft_rtc_back_len2002_factors_2_13_7_11_wgs_182_tpt_182_halfLds_dp_op_CI_CI_unitstride_sbrr_C2R_dirReg
    .private_segment_fixed_size: 36
    .sgpr_count:     48
    .sgpr_spill_count: 0
    .symbol:         fft_rtc_back_len2002_factors_2_13_7_11_wgs_182_tpt_182_halfLds_dp_op_CI_CI_unitstride_sbrr_C2R_dirReg.kd
    .uniform_work_group_size: 1
    .uses_dynamic_stack: false
    .vgpr_count:     256
    .vgpr_spill_count: 8
    .wavefront_size: 32
    .workgroup_processor_mode: 1
amdhsa.target:   amdgcn-amd-amdhsa--gfx1100
amdhsa.version:
  - 1
  - 2
...

	.end_amdgpu_metadata
